;; amdgpu-corpus repo=ROCm/rocFFT kind=compiled arch=gfx1201 opt=O3
	.text
	.amdgcn_target "amdgcn-amd-amdhsa--gfx1201"
	.amdhsa_code_object_version 6
	.protected	bluestein_single_fwd_len1872_dim1_sp_op_CI_CI ; -- Begin function bluestein_single_fwd_len1872_dim1_sp_op_CI_CI
	.globl	bluestein_single_fwd_len1872_dim1_sp_op_CI_CI
	.p2align	8
	.type	bluestein_single_fwd_len1872_dim1_sp_op_CI_CI,@function
bluestein_single_fwd_len1872_dim1_sp_op_CI_CI: ; @bluestein_single_fwd_len1872_dim1_sp_op_CI_CI
; %bb.0:
	s_load_b128 s[8:11], s[0:1], 0x28
	v_mul_u32_u24_e32 v1, 0x1a5, v0
	s_mov_b32 s2, exec_lo
	v_mov_b32_e32 v61, 0
	s_delay_alu instid0(VALU_DEP_2) | instskip(NEXT) | instid1(VALU_DEP_1)
	v_lshrrev_b32_e32 v1, 16, v1
	v_add_nc_u32_e32 v60, ttmp9, v1
	s_wait_kmcnt 0x0
	s_delay_alu instid0(VALU_DEP_1)
	v_cmpx_gt_u64_e64 s[8:9], v[60:61]
	s_cbranch_execz .LBB0_15
; %bb.1:
	s_clause 0x1
	s_load_b64 s[8:9], s[0:1], 0x0
	s_load_b64 s[12:13], s[0:1], 0x38
	v_mul_lo_u16 v1, 0x9c, v1
	s_delay_alu instid0(VALU_DEP_1) | instskip(NEXT) | instid1(VALU_DEP_1)
	v_sub_nc_u16 v0, v0, v1
	v_and_b32_e32 v90, 0xffff, v0
	v_cmp_gt_u16_e32 vcc_lo, 0x90, v0
	s_delay_alu instid0(VALU_DEP_2)
	v_lshlrev_b32_e32 v89, 3, v90
	s_and_saveexec_b32 s3, vcc_lo
	s_cbranch_execz .LBB0_3
; %bb.2:
	s_load_b64 s[4:5], s[0:1], 0x18
	s_delay_alu instid0(VALU_DEP_1)
	v_add_nc_u32_e32 v54, 0x800, v89
	v_add_nc_u32_e32 v56, 0x1800, v89
	s_wait_kmcnt 0x0
	s_load_b128 s[4:7], s[4:5], 0x0
	s_wait_kmcnt 0x0
	v_mad_co_u64_u32 v[0:1], null, s6, v60, 0
	v_mad_co_u64_u32 v[2:3], null, s4, v90, 0
	s_delay_alu instid0(VALU_DEP_1) | instskip(NEXT) | instid1(VALU_DEP_1)
	v_mad_co_u64_u32 v[4:5], null, s7, v60, v[1:2]
	v_mad_co_u64_u32 v[5:6], null, s5, v90, v[3:4]
	v_mov_b32_e32 v1, v4
	s_mul_u64 s[4:5], s[4:5], 0x480
	s_delay_alu instid0(VALU_DEP_1) | instskip(NEXT) | instid1(VALU_DEP_3)
	v_lshlrev_b64_e32 v[0:1], 3, v[0:1]
	v_mov_b32_e32 v3, v5
	s_delay_alu instid0(VALU_DEP_2) | instskip(NEXT) | instid1(VALU_DEP_2)
	v_add_co_u32 v10, s2, s10, v0
	v_lshlrev_b64_e32 v[2:3], 3, v[2:3]
	s_delay_alu instid0(VALU_DEP_4)
	v_add_co_ci_u32_e64 v11, s2, s11, v1, s2
	s_clause 0xa
	global_load_b64 v[0:1], v89, s[8:9]
	global_load_b64 v[4:5], v89, s[8:9] offset:1152
	global_load_b64 v[6:7], v89, s[8:9] offset:2304
	;; [unrolled: 1-line block ×10, first 2 shown]
	v_add_co_u32 v2, s2, v10, v2
	s_wait_alu 0xf1ff
	v_add_co_ci_u32_e64 v3, s2, v11, v3, s2
	s_wait_alu 0xfffe
	s_delay_alu instid0(VALU_DEP_2) | instskip(SKIP_1) | instid1(VALU_DEP_2)
	v_add_co_u32 v10, s2, v2, s4
	s_wait_alu 0xf1ff
	v_add_co_ci_u32_e64 v11, s2, s5, v3, s2
	global_load_b64 v[2:3], v[2:3], off
	v_add_co_u32 v20, s2, v10, s4
	s_wait_alu 0xf1ff
	v_add_co_ci_u32_e64 v21, s2, s5, v11, s2
	s_delay_alu instid0(VALU_DEP_2) | instskip(SKIP_1) | instid1(VALU_DEP_2)
	v_add_co_u32 v28, s2, v20, s4
	s_wait_alu 0xf1ff
	v_add_co_ci_u32_e64 v29, s2, s5, v21, s2
	s_delay_alu instid0(VALU_DEP_2) | instskip(SKIP_1) | instid1(VALU_DEP_2)
	v_add_co_u32 v30, s2, v28, s4
	s_wait_alu 0xf1ff
	v_add_co_ci_u32_e64 v31, s2, s5, v29, s2
	s_clause 0x2
	global_load_b64 v[10:11], v[10:11], off
	global_load_b64 v[20:21], v[20:21], off
	;; [unrolled: 1-line block ×3, first 2 shown]
	v_add_co_u32 v32, s2, v30, s4
	s_wait_alu 0xf1ff
	v_add_co_ci_u32_e64 v33, s2, s5, v31, s2
	global_load_b64 v[30:31], v[30:31], off
	v_add_co_u32 v34, s2, v32, s4
	s_wait_alu 0xf1ff
	v_add_co_ci_u32_e64 v35, s2, s5, v33, s2
	global_load_b64 v[32:33], v[32:33], off
	;; [unrolled: 4-line block ×7, first 2 shown]
	v_add_co_u32 v46, s2, v44, s4
	s_wait_alu 0xf1ff
	v_add_co_ci_u32_e64 v47, s2, s5, v45, s2
	global_load_b64 v[48:49], v89, s[8:9] offset:12672
	global_load_b64 v[44:45], v[44:45], off
	global_load_b64 v[50:51], v89, s[8:9] offset:13824
	global_load_b64 v[46:47], v[46:47], off
	v_add_nc_u32_e32 v58, 0x2c00, v89
	s_wait_loadcnt 0xe
	v_mul_f32_e32 v52, v3, v1
	v_mul_f32_e32 v53, v2, v1
	s_delay_alu instid0(VALU_DEP_1)
	v_fma_f32 v53, v3, v0, -v53
	s_wait_loadcnt 0xd
	v_mul_f32_e32 v1, v11, v5
	s_wait_loadcnt 0xc
	v_mul_f32_e32 v3, v21, v7
	v_mul_f32_e32 v7, v20, v7
	s_delay_alu instid0(VALU_DEP_3)
	v_fmac_f32_e32 v1, v10, v4
	v_dual_fmac_f32 v52, v2, v0 :: v_dual_add_nc_u32 v55, 0x1000, v89
	v_mul_f32_e32 v0, v10, v5
	s_wait_loadcnt 0xb
	v_mul_f32_e32 v5, v29, v9
	v_mul_f32_e32 v9, v28, v9
	v_fmac_f32_e32 v3, v20, v6
	v_fma_f32 v2, v11, v4, -v0
	s_wait_loadcnt 0xa
	v_mul_f32_e32 v0, v31, v13
	v_fma_f32 v4, v21, v6, -v7
	v_fmac_f32_e32 v5, v28, v8
	v_fma_f32 v6, v29, v8, -v9
	ds_store_2addr_b64 v89, v[52:53], v[1:2] offset1:144
	v_dual_fmac_f32 v0, v30, v12 :: v_dual_add_nc_u32 v57, 0x2400, v89
	s_wait_loadcnt 0x9
	v_mul_f32_e32 v2, v33, v15
	ds_store_2addr_b64 v54, v[3:4], v[5:6] offset0:32 offset1:176
	s_wait_loadcnt 0x7
	v_dual_mul_f32 v6, v37, v19 :: v_dual_mul_f32 v7, v30, v13
	v_dual_mul_f32 v3, v32, v15 :: v_dual_mul_f32 v4, v35, v17
	s_wait_loadcnt 0x6
	v_dual_mul_f32 v5, v34, v17 :: v_dual_mul_f32 v8, v39, v23
	s_delay_alu instid0(VALU_DEP_3)
	v_fmac_f32_e32 v6, v36, v18
	v_fma_f32 v1, v31, v12, -v7
	v_mul_f32_e32 v7, v36, v19
	s_wait_loadcnt 0x5
	v_mul_f32_e32 v11, v40, v25
	v_dual_mul_f32 v10, v41, v25 :: v_dual_mul_f32 v9, v38, v23
	v_fmac_f32_e32 v2, v32, v14
	v_fma_f32 v3, v33, v14, -v3
	s_wait_loadcnt 0x4
	v_mul_f32_e32 v12, v43, v27
	v_dual_fmac_f32 v10, v40, v24 :: v_dual_mul_f32 v13, v42, v27
	s_wait_loadcnt 0x2
	v_mul_f32_e32 v14, v45, v49
	s_delay_alu instid0(VALU_DEP_3)
	v_dual_mul_f32 v15, v44, v49 :: v_dual_fmac_f32 v12, v42, v26
	v_fmac_f32_e32 v4, v34, v16
	v_fma_f32 v5, v35, v16, -v5
	s_wait_loadcnt 0x0
	v_mul_f32_e32 v16, v47, v51
	v_dual_mul_f32 v17, v46, v51 :: v_dual_fmac_f32 v14, v44, v48
	v_fmac_f32_e32 v8, v38, v22
	v_fma_f32 v7, v37, v18, -v7
	v_fma_f32 v9, v39, v22, -v9
	;; [unrolled: 1-line block ×5, first 2 shown]
	v_fmac_f32_e32 v16, v46, v50
	v_fma_f32 v17, v47, v50, -v17
	ds_store_2addr_b64 v55, v[0:1], v[2:3] offset0:64 offset1:208
	ds_store_2addr_b64 v56, v[4:5], v[6:7] offset0:96 offset1:240
	ds_store_2addr_b64 v57, v[8:9], v[10:11] offset1:144
	ds_store_2addr_b64 v58, v[12:13], v[14:15] offset0:32 offset1:176
	ds_store_b64 v89, v[16:17] offset:13824
.LBB0_3:
	s_or_b32 exec_lo, exec_lo, s3
	s_clause 0x1
	s_load_b64 s[2:3], s[0:1], 0x20
	s_load_b64 s[0:1], s[0:1], 0x8
	v_mov_b32_e32 v0, 0
	v_mov_b32_e32 v1, 0
	global_wb scope:SCOPE_SE
	s_wait_dscnt 0x0
	s_wait_kmcnt 0x0
	s_barrier_signal -1
	s_barrier_wait -1
	global_inv scope:SCOPE_SE
                                        ; implicit-def: $vgpr14
                                        ; implicit-def: $vgpr6
                                        ; implicit-def: $vgpr24
                                        ; implicit-def: $vgpr10
                                        ; implicit-def: $vgpr18
                                        ; implicit-def: $vgpr22
                                        ; kill: def $vgpr2 killed $sgpr0 killed $exec
	s_and_saveexec_b32 s4, vcc_lo
	s_cbranch_execz .LBB0_5
; %bb.4:
	v_add_nc_u32_e32 v4, 0x800, v89
	v_add_nc_u32_e32 v5, 0x1000, v89
	;; [unrolled: 1-line block ×5, first 2 shown]
	ds_load_2addr_b64 v[0:3], v89 offset1:144
	ds_load_2addr_b64 v[20:23], v4 offset0:32 offset1:176
	ds_load_2addr_b64 v[16:19], v5 offset0:64 offset1:208
	;; [unrolled: 1-line block ×3, first 2 shown]
	ds_load_2addr_b64 v[8:11], v7 offset1:144
	ds_load_2addr_b64 v[4:7], v24 offset0:32 offset1:176
	ds_load_b64 v[24:25], v89 offset:13824
.LBB0_5:
	s_wait_alu 0xfffe
	s_or_b32 exec_lo, exec_lo, s4
	s_wait_dscnt 0x0
	v_dual_sub_f32 v66, v2, v24 :: v_dual_sub_f32 v67, v20, v6
	v_dual_sub_f32 v54, v3, v25 :: v_dual_add_f32 v33, v25, v3
	v_dual_add_f32 v30, v24, v2 :: v_dual_add_f32 v31, v6, v20
	s_delay_alu instid0(VALU_DEP_3) | instskip(SKIP_2) | instid1(VALU_DEP_3)
	v_dual_mul_f32 v51, 0xbeedf032, v66 :: v_dual_sub_f32 v56, v21, v7
	v_add_f32_e32 v32, v7, v21
	v_dual_add_f32 v34, v4, v22 :: v_dual_add_f32 v35, v5, v23
	v_fma_f32 v27, 0x3f62ad3f, v33, -v51
	v_mul_f32_e32 v42, 0xbeedf032, v54
	v_dual_mul_f32 v43, 0xbf52af12, v56 :: v_dual_sub_f32 v64, v17, v11
	v_sub_f32_e32 v71, v12, v14
	s_delay_alu instid0(VALU_DEP_3) | instskip(SKIP_3) | instid1(VALU_DEP_4)
	v_dual_add_f32 v27, v27, v1 :: v_dual_fmamk_f32 v26, v30, 0x3f62ad3f, v42
	v_sub_f32_e32 v63, v23, v5
	v_mul_f32_e32 v47, 0xbf52af12, v67
	v_dual_fmamk_f32 v28, v31, 0x3f116cb1, v43 :: v_dual_sub_f32 v69, v22, v4
	v_add_f32_e32 v26, v26, v0
	s_delay_alu instid0(VALU_DEP_4) | instskip(NEXT) | instid1(VALU_DEP_4)
	v_dual_mul_f32 v44, 0xbf7e222b, v63 :: v_dual_add_f32 v37, v11, v17
	v_fma_f32 v29, 0x3f116cb1, v32, -v47
	v_dual_sub_f32 v68, v16, v10 :: v_dual_mul_f32 v45, 0xbf6f5d39, v64
	s_delay_alu instid0(VALU_DEP_4) | instskip(NEXT) | instid1(VALU_DEP_4)
	v_add_f32_e32 v26, v28, v26
	v_dual_fmamk_f32 v28, v34, 0x3df6dbef, v44 :: v_dual_sub_f32 v65, v19, v9
	s_delay_alu instid0(VALU_DEP_4) | instskip(NEXT) | instid1(VALU_DEP_2)
	v_dual_add_f32 v27, v29, v27 :: v_dual_mul_f32 v48, 0xbf7e222b, v69
	v_dual_sub_f32 v55, v13, v15 :: v_dual_add_f32 v26, v28, v26
	v_sub_f32_e32 v70, v18, v8
	v_dual_add_f32 v36, v10, v16 :: v_dual_add_f32 v39, v9, v19
	s_delay_alu instid0(VALU_DEP_4) | instskip(NEXT) | instid1(VALU_DEP_4)
	v_fma_f32 v29, 0x3df6dbef, v35, -v48
	v_mul_f32_e32 v49, 0xbe750f2a, v55
	s_delay_alu instid0(VALU_DEP_4) | instskip(NEXT) | instid1(VALU_DEP_4)
	v_mul_f32_e32 v52, 0xbf29c268, v70
	v_dual_fmamk_f32 v28, v36, 0xbeb58ec6, v45 :: v_dual_add_f32 v41, v15, v13
	s_delay_alu instid0(VALU_DEP_4) | instskip(SKIP_1) | instid1(VALU_DEP_3)
	v_dual_add_f32 v27, v29, v27 :: v_dual_mul_f32 v50, 0xbf6f5d39, v68
	v_dual_add_f32 v38, v8, v18 :: v_dual_mul_f32 v53, 0xbe750f2a, v71
	v_add_f32_e32 v26, v28, v26
	v_mul_lo_u16 v92, v90, 13
	s_delay_alu instid0(VALU_DEP_4)
	v_fma_f32 v29, 0xbeb58ec6, v37, -v50
	global_wb scope:SCOPE_SE
	s_barrier_signal -1
	s_barrier_wait -1
	global_inv scope:SCOPE_SE
	v_add_f32_e32 v27, v29, v27
	v_fma_f32 v29, 0xbf3f9e67, v39, -v52
	s_delay_alu instid0(VALU_DEP_1) | instskip(NEXT) | instid1(VALU_DEP_1)
	v_dual_mul_f32 v46, 0xbf29c268, v65 :: v_dual_add_f32 v27, v29, v27
	v_fmamk_f32 v28, v38, 0xbf3f9e67, v46
	v_fma_f32 v29, 0xbf788fa5, v41, -v53
	s_delay_alu instid0(VALU_DEP_2) | instskip(SKIP_1) | instid1(VALU_DEP_3)
	v_add_f32_e32 v26, v28, v26
	v_add_f32_e32 v40, v14, v12
	;; [unrolled: 1-line block ×3, first 2 shown]
	s_delay_alu instid0(VALU_DEP_2) | instskip(NEXT) | instid1(VALU_DEP_1)
	v_fmamk_f32 v28, v40, 0xbf788fa5, v49
	v_add_f32_e32 v61, v28, v26
	s_and_saveexec_b32 s4, vcc_lo
	s_cbranch_execz .LBB0_7
; %bb.6:
	v_dual_mul_f32 v78, 0x3df6dbef, v33 :: v_dual_mul_f32 v85, 0x3df6dbef, v35
	v_mul_f32_e32 v93, 0xbf7e222b, v54
	v_dual_mul_f32 v86, 0xbf788fa5, v32 :: v_dual_mul_f32 v95, 0xbf788fa5, v41
	s_delay_alu instid0(VALU_DEP_3) | instskip(SKIP_1) | instid1(VALU_DEP_4)
	v_fmamk_f32 v26, v66, 0x3f7e222b, v78
	v_mul_f32_e32 v96, 0xbe750f2a, v56
	v_fmamk_f32 v28, v30, 0x3df6dbef, v93
	v_mul_f32_e32 v59, 0xbeb58ec6, v36
	v_dual_mul_f32 v87, 0xbeb58ec6, v37 :: v_dual_mul_f32 v88, 0xbeb58ec6, v35
	s_delay_alu instid0(VALU_DEP_3)
	v_dual_mul_f32 v57, 0xbf3f9e67, v38 :: v_dual_add_f32 v28, v28, v0
	v_add_f32_e32 v26, v26, v1
	v_dual_mul_f32 v58, 0xbf788fa5, v40 :: v_dual_fmamk_f32 v29, v31, 0xbf788fa5, v96
	v_fmamk_f32 v27, v67, 0x3e750f2a, v86
	v_mul_f32_e32 v98, 0x3f6f5d39, v63
	v_dual_mul_f32 v100, 0x3eedf032, v64 :: v_dual_mul_f32 v107, 0x3eedf032, v63
	v_mul_f32_e32 v94, 0x3f62ad3f, v37
	v_dual_add_f32 v28, v29, v28 :: v_dual_mul_f32 v91, 0xbf3f9e67, v39
	v_dual_add_f32 v26, v27, v26 :: v_dual_fmamk_f32 v27, v69, 0xbf6f5d39, v88
	v_dual_fmamk_f32 v29, v34, 0xbeb58ec6, v98 :: v_dual_mul_f32 v76, 0xbeb58ec6, v33
	v_dual_mul_f32 v77, 0xbf3f9e67, v32 :: v_dual_mul_f32 v74, 0xbf3f9e67, v33
	s_delay_alu instid0(VALU_DEP_2) | instskip(NEXT) | instid1(VALU_DEP_4)
	v_dual_mul_f32 v127, 0xbf29c268, v69 :: v_dual_add_f32 v28, v29, v28
	v_dual_fmamk_f32 v29, v36, 0x3f62ad3f, v100 :: v_dual_add_f32 v26, v27, v26
	v_fmamk_f32 v27, v68, 0xbeedf032, v94
	v_mul_f32_e32 v97, 0x3f116cb1, v39
	v_fmamk_f32 v72, v67, 0xbf29c268, v77
	s_delay_alu instid0(VALU_DEP_4) | instskip(NEXT) | instid1(VALU_DEP_3)
	v_dual_mul_f32 v101, 0xbf52af12, v65 :: v_dual_add_f32 v28, v29, v28
	v_dual_add_f32 v26, v27, v26 :: v_dual_fmamk_f32 v27, v70, 0x3f52af12, v97
	v_mul_f32_e32 v99, 0xbf3f9e67, v41
	s_delay_alu instid0(VALU_DEP_3) | instskip(SKIP_1) | instid1(VALU_DEP_4)
	v_fmamk_f32 v29, v38, 0x3f116cb1, v101
	v_mul_f32_e32 v116, 0x3f7e222b, v56
	v_dual_mul_f32 v111, 0x3df6dbef, v32 :: v_dual_add_f32 v26, v27, v26
	s_delay_alu instid0(VALU_DEP_3) | instskip(NEXT) | instid1(VALU_DEP_3)
	v_dual_fmamk_f32 v27, v71, 0x3f29c268, v99 :: v_dual_add_f32 v28, v29, v28
	v_fmamk_f32 v118, v31, 0x3df6dbef, v116
	v_mul_f32_e32 v102, 0xbf29c268, v55
	v_mul_f32_e32 v103, 0xbf6f5d39, v54
	s_delay_alu instid0(VALU_DEP_4) | instskip(SKIP_1) | instid1(VALU_DEP_4)
	v_dual_add_f32 v27, v27, v26 :: v_dual_fmamk_f32 v26, v66, 0x3f6f5d39, v76
	v_mul_f32_e32 v105, 0x3f29c268, v56
	v_fmamk_f32 v29, v40, 0xbf3f9e67, v102
	v_mul_f32_e32 v79, 0x3f62ad3f, v35
	s_delay_alu instid0(VALU_DEP_4) | instskip(SKIP_3) | instid1(VALU_DEP_4)
	v_dual_mul_f32 v109, 0xbf7e222b, v64 :: v_dual_add_f32 v26, v26, v1
	v_fmamk_f32 v75, v67, 0xbf7e222b, v111
	v_mul_f32_e32 v104, 0x3df6dbef, v37
	v_dual_mul_f32 v110, 0x3e750f2a, v65 :: v_dual_mul_f32 v121, 0x3e750f2a, v64
	v_add_f32_e32 v72, v72, v26
	v_add_f32_e32 v26, v29, v28
	v_fmamk_f32 v73, v69, 0xbeedf032, v79
	v_fmamk_f32 v28, v30, 0xbeb58ec6, v103
	v_mul_f32_e32 v84, 0x3df6dbef, v34
	v_mul_f32_e32 v106, 0xbf788fa5, v39
	v_dual_mul_f32 v108, 0x3f116cb1, v41 :: v_dual_mul_f32 v113, 0x3f116cb1, v35
	v_add_f32_e32 v29, v73, v72
	v_dual_add_f32 v28, v28, v0 :: v_dual_fmamk_f32 v73, v31, 0xbf3f9e67, v105
	v_mul_f32_e32 v112, 0x3f52af12, v55
	v_mul_f32_e32 v114, 0xbf29c268, v54
	;; [unrolled: 1-line block ×4, first 2 shown]
	v_dual_add_f32 v28, v73, v28 :: v_dual_fmamk_f32 v73, v34, 0x3f62ad3f, v107
	v_fmamk_f32 v123, v36, 0xbf788fa5, v121
	v_fmac_f32_e32 v111, 0x3f7e222b, v67
	v_dual_mul_f32 v124, 0x3eedf032, v65 :: v_dual_mul_f32 v125, 0x3eedf032, v67
	s_delay_alu instid0(VALU_DEP_4)
	v_dual_add_f32 v28, v73, v28 :: v_dual_fmamk_f32 v73, v36, 0x3df6dbef, v109
	v_fmamk_f32 v129, v35, 0xbf3f9e67, v127
	v_mul_f32_e32 v131, 0xbf6f5d39, v70
	v_mul_f32_e32 v120, 0xbeb58ec6, v41
	v_fmac_f32_e32 v76, 0xbf6f5d39, v66
	v_dual_add_f32 v28, v73, v28 :: v_dual_fmamk_f32 v73, v38, 0xbf788fa5, v110
	v_mul_f32_e32 v128, 0xbe750f2a, v54
	v_fma_f32 v103, 0xbeb58ec6, v30, -v103
	v_fma_f32 v93, 0x3df6dbef, v30, -v93
	v_fmac_f32_e32 v86, 0xbe750f2a, v67
	v_dual_add_f32 v28, v73, v28 :: v_dual_fmamk_f32 v73, v40, 0x3f116cb1, v112
	v_mul_f32_e32 v115, 0xbf788fa5, v37
	v_dual_mul_f32 v82, 0x3f116cb1, v31 :: v_dual_mul_f32 v83, 0x3f116cb1, v32
	v_fmac_f32_e32 v88, 0x3f6f5d39, v69
	s_delay_alu instid0(VALU_DEP_4) | instskip(SKIP_3) | instid1(VALU_DEP_4)
	v_dual_add_f32 v28, v73, v28 :: v_dual_fmamk_f32 v73, v30, 0xbf3f9e67, v114
	v_dual_mul_f32 v80, 0x3f62ad3f, v30 :: v_dual_mul_f32 v81, 0x3f62ad3f, v33
	v_fmac_f32_e32 v94, 0x3eedf032, v68
	v_add_f32_e32 v2, v2, v0
	v_dual_add_f32 v73, v73, v0 :: v_dual_add_f32 v48, v48, v85
	v_dual_add_f32 v76, v76, v1 :: v_dual_add_f32 v103, v103, v0
	s_delay_alu instid0(VALU_DEP_2) | instskip(SKIP_1) | instid1(VALU_DEP_2)
	v_dual_add_f32 v2, v20, v2 :: v_dual_add_f32 v73, v118, v73
	v_dual_fmamk_f32 v118, v34, 0x3f116cb1, v119 :: v_dual_add_f32 v93, v93, v0
	v_dual_add_f32 v3, v3, v1 :: v_dual_add_f32 v2, v22, v2
	s_delay_alu instid0(VALU_DEP_2) | instskip(SKIP_1) | instid1(VALU_DEP_3)
	v_dual_fmac_f32 v99, 0xbf29c268, v71 :: v_dual_add_f32 v118, v118, v73
	v_dual_fmamk_f32 v72, v68, 0x3f7e222b, v104 :: v_dual_add_f32 v47, v47, v83
	v_add_f32_e32 v2, v16, v2
	v_fmac_f32_e32 v97, 0xbf52af12, v70
	v_add_f32_e32 v81, v51, v81
	s_delay_alu instid0(VALU_DEP_4) | instskip(NEXT) | instid1(VALU_DEP_4)
	v_dual_add_f32 v29, v72, v29 :: v_dual_fmamk_f32 v72, v70, 0xbe750f2a, v106
	v_dual_add_f32 v2, v18, v2 :: v_dual_add_f32 v3, v21, v3
	s_delay_alu instid0(VALU_DEP_3) | instskip(SKIP_1) | instid1(VALU_DEP_4)
	v_add_f32_e32 v81, v81, v1
	v_mul_f32_e32 v21, 0x3eedf032, v55
	v_dual_add_f32 v29, v72, v29 :: v_dual_fmamk_f32 v72, v71, 0xbf52af12, v108
	v_fma_f32 v96, 0xbf788fa5, v31, -v96
	v_dual_fmac_f32 v78, 0xbf7e222b, v66 :: v_dual_add_f32 v3, v23, v3
	v_add_f32_e32 v47, v47, v81
	s_delay_alu instid0(VALU_DEP_4) | instskip(NEXT) | instid1(VALU_DEP_4)
	v_add_f32_e32 v29, v72, v29
	v_dual_add_f32 v93, v96, v93 :: v_dual_fmamk_f32 v72, v66, 0x3f29c268, v74
	v_fmac_f32_e32 v74, 0xbf29c268, v66
	v_mul_f32_e32 v135, 0x3f52af12, v64
	v_fma_f32 v105, 0xbf3f9e67, v31, -v105
	v_fmac_f32_e32 v104, 0xbf7e222b, v68
	v_add_f32_e32 v72, v72, v1
	v_add_f32_e32 v74, v74, v1
	v_mul_f32_e32 v137, 0xbf6f5d39, v65
	v_fma_f32 v136, 0x3f116cb1, v36, -v135
	s_delay_alu instid0(VALU_DEP_4) | instskip(NEXT) | instid1(VALU_DEP_4)
	v_dual_fmac_f32 v79, 0x3eedf032, v69 :: v_dual_add_f32 v72, v75, v72
	v_dual_fmamk_f32 v75, v69, 0x3f52af12, v113 :: v_dual_add_f32 v74, v111, v74
	v_fmac_f32_e32 v113, 0xbf52af12, v69
	v_fmamk_f32 v126, v32, 0x3f62ad3f, v125
	s_delay_alu instid0(VALU_DEP_3)
	v_dual_fmac_f32 v77, 0x3f29c268, v67 :: v_dual_add_f32 v72, v75, v72
	v_fmamk_f32 v75, v68, 0xbe750f2a, v115
	v_mul_f32_e32 v117, 0x3f62ad3f, v39
	v_add_f32_e32 v113, v113, v74
	v_fmac_f32_e32 v115, 0x3e750f2a, v68
	v_mul_f32_e32 v122, 0xbe750f2a, v66
	s_delay_alu instid0(VALU_DEP_4) | instskip(SKIP_1) | instid1(VALU_DEP_4)
	v_dual_add_f32 v72, v75, v72 :: v_dual_fmamk_f32 v75, v70, 0xbeedf032, v117
	v_fmac_f32_e32 v117, 0x3eedf032, v70
	v_dual_add_f32 v113, v115, v113 :: v_dual_mul_f32 v134, 0x3f7e222b, v71
	v_add_f32_e32 v76, v77, v76
	s_delay_alu instid0(VALU_DEP_4) | instskip(SKIP_1) | instid1(VALU_DEP_4)
	v_add_f32_e32 v72, v75, v72
	v_fmamk_f32 v75, v71, 0x3f6f5d39, v120
	v_add_f32_e32 v113, v117, v113
	v_fma_f32 v96, 0xbeb58ec6, v34, -v98
	v_add_f32_e32 v76, v79, v76
	s_delay_alu instid0(VALU_DEP_4) | instskip(SKIP_1) | instid1(VALU_DEP_3)
	v_dual_mul_f32 v98, 0xbf52af12, v66 :: v_dual_add_f32 v73, v75, v72
	v_dual_fmamk_f32 v72, v33, 0xbf788fa5, v122 :: v_dual_add_f32 v75, v123, v118
	v_add_f32_e32 v104, v104, v76
	v_add_f32_e32 v78, v78, v1
	;; [unrolled: 1-line block ×3, first 2 shown]
	s_delay_alu instid0(VALU_DEP_4) | instskip(NEXT) | instid1(VALU_DEP_3)
	v_dual_add_f32 v72, v72, v1 :: v_dual_fmamk_f32 v93, v33, 0x3f116cb1, v98
	v_dual_mul_f32 v69, 0xbe750f2a, v69 :: v_dual_add_f32 v78, v86, v78
	v_fmac_f32_e32 v108, 0x3f52af12, v71
	s_delay_alu instid0(VALU_DEP_3) | instskip(SKIP_1) | instid1(VALU_DEP_4)
	v_dual_add_f32 v126, v126, v72 :: v_dual_add_f32 v93, v93, v1
	v_fmac_f32_e32 v106, 0x3e750f2a, v70
	v_add_f32_e32 v78, v88, v78
	v_fma_f32 v88, 0x3f116cb1, v40, -v112
	s_delay_alu instid0(VALU_DEP_4) | instskip(SKIP_4) | instid1(VALU_DEP_4)
	v_add_f32_e32 v126, v129, v126
	v_fmamk_f32 v129, v37, 0x3f116cb1, v130
	v_dual_mul_f32 v123, 0xbf6f5d39, v55 :: v_dual_add_f32 v104, v106, v104
	v_mul_f32_e32 v65, 0x3f7e222b, v65
	v_dual_mul_f32 v54, 0xbf52af12, v54 :: v_dual_add_f32 v47, v48, v47
	v_dual_add_f32 v126, v129, v126 :: v_dual_fmamk_f32 v129, v39, 0xbeb58ec6, v131
	v_mul_f32_e32 v133, 0xbf29c268, v63
	v_fmac_f32_e32 v120, 0xbf6f5d39, v71
	v_mul_f32_e32 v63, 0xbe750f2a, v63
	s_delay_alu instid0(VALU_DEP_4) | instskip(SKIP_1) | instid1(VALU_DEP_4)
	v_dual_mul_f32 v71, 0x3eedf032, v71 :: v_dual_add_f32 v126, v129, v126
	v_fmamk_f32 v129, v41, 0x3df6dbef, v134
	v_dual_fmamk_f32 v118, v38, 0x3f62ad3f, v124 :: v_dual_add_f32 v77, v120, v113
	v_dual_add_f32 v94, v94, v78 :: v_dual_add_f32 v3, v17, v3
	s_delay_alu instid0(VALU_DEP_2) | instskip(SKIP_4) | instid1(VALU_DEP_4)
	v_dual_mul_f32 v68, 0x3f29c268, v68 :: v_dual_add_f32 v75, v118, v75
	v_dual_fmamk_f32 v118, v40, 0xbeb58ec6, v123 :: v_dual_add_f32 v17, v50, v87
	v_mul_f32_e32 v70, 0x3f7e222b, v70
	v_fma_f32 v83, 0x3df6dbef, v38, -v65
	v_fma_f32 v23, 0x3f62ad3f, v40, -v21
	v_add_f32_e32 v72, v118, v75
	v_fma_f32 v75, 0xbf788fa5, v30, -v128
	v_mul_f32_e32 v118, 0x3eedf032, v56
	v_dual_mul_f32 v56, 0xbf6f5d39, v56 :: v_dual_add_f32 v3, v19, v3
	v_dual_add_f32 v16, v17, v47 :: v_dual_fmac_f32 v135, 0x3f116cb1, v36
	s_delay_alu instid0(VALU_DEP_4) | instskip(NEXT) | instid1(VALU_DEP_4)
	v_add_f32_e32 v75, v75, v0
	v_fma_f32 v132, 0x3f62ad3f, v31, -v118
	v_fma_f32 v114, 0xbf3f9e67, v30, -v114
	v_add_f32_e32 v17, v52, v91
	v_add_f32_e32 v2, v12, v2
	v_fmac_f32_e32 v118, 0x3f62ad3f, v31
	v_add_f32_e32 v75, v132, v75
	v_fma_f32 v132, 0xbf3f9e67, v34, -v133
	v_add_f32_e32 v114, v114, v0
	v_fma_f32 v116, 0x3df6dbef, v31, -v116
	v_add_f32_e32 v3, v13, v3
	v_sub_f32_e32 v13, v82, v43
	v_dual_add_f32 v132, v132, v75 :: v_dual_add_f32 v75, v129, v126
	v_fma_f32 v129, 0xbeb58ec6, v38, -v137
	v_add_f32_e32 v16, v17, v16
	s_delay_alu instid0(VALU_DEP_3)
	v_dual_add_f32 v17, v53, v95 :: v_dual_add_f32 v126, v136, v132
	v_mul_f32_e32 v132, 0x3f7e222b, v55
	v_add_f32_e32 v2, v14, v2
	v_fma_f32 v14, 0xbf788fa5, v33, -v122
	v_add_f32_e32 v15, v15, v3
	v_add_f32_e32 v111, v129, v126
	v_fma_f32 v126, 0x3df6dbef, v40, -v132
	v_mul_f32_e32 v64, 0x3f29c268, v64
	v_add_f32_e32 v2, v8, v2
	v_dual_add_f32 v8, v14, v1 :: v_dual_fmac_f32 v65, 0x3df6dbef, v38
	s_delay_alu instid0(VALU_DEP_4) | instskip(SKIP_3) | instid1(VALU_DEP_3)
	v_dual_add_f32 v74, v126, v111 :: v_dual_add_f32 v111, v116, v114
	v_fma_f32 v114, 0x3f116cb1, v34, -v119
	v_dual_fmac_f32 v132, 0x3df6dbef, v40 :: v_dual_add_f32 v9, v9, v15
	v_dual_add_f32 v2, v10, v2 :: v_dual_fmac_f32 v21, 0x3f62ad3f, v40
	v_add_f32_e32 v111, v114, v111
	v_fma_f32 v114, 0xbf788fa5, v36, -v121
	s_delay_alu instid0(VALU_DEP_4) | instskip(SKIP_1) | instid1(VALU_DEP_3)
	v_dual_fmac_f32 v128, 0xbf788fa5, v30 :: v_dual_add_f32 v9, v11, v9
	v_fma_f32 v11, 0x3f62ad3f, v32, -v125
	v_dual_add_f32 v4, v4, v2 :: v_dual_add_f32 v111, v114, v111
	v_fma_f32 v114, 0x3f62ad3f, v38, -v124
	s_delay_alu instid0(VALU_DEP_3) | instskip(SKIP_1) | instid1(VALU_DEP_4)
	v_dual_add_f32 v5, v5, v9 :: v_dual_add_f32 v8, v11, v8
	v_fma_f32 v9, 0xbf3f9e67, v35, -v127
	v_add_f32_e32 v4, v6, v4
	s_delay_alu instid0(VALU_DEP_4)
	v_add_f32_e32 v79, v114, v111
	v_fma_f32 v111, 0xbeb58ec6, v40, -v123
	v_sub_f32_e32 v11, v58, v49
	v_add_f32_e32 v5, v7, v5
	v_add_f32_e32 v7, v9, v8
	v_fma_f32 v8, 0x3f116cb1, v37, -v130
	v_add_f32_e32 v76, v111, v79
	v_add_f32_e32 v79, v105, v103
	v_fma_f32 v103, 0x3f62ad3f, v34, -v107
	v_fma_f32 v105, 0x3df6dbef, v36, -v109
	;; [unrolled: 1-line block ×3, first 2 shown]
	v_dual_add_f32 v4, v24, v4 :: v_dual_add_f32 v5, v25, v5
	s_delay_alu instid0(VALU_DEP_4) | instskip(SKIP_3) | instid1(VALU_DEP_4)
	v_add_f32_e32 v103, v103, v79
	v_add_f32_e32 v6, v8, v7
	v_fma_f32 v7, 0xbeb58ec6, v39, -v131
	v_dual_add_f32 v8, v128, v0 :: v_dual_add_f32 v1, v9, v1
	v_add_f32_e32 v86, v105, v103
	v_fma_f32 v103, 0xbf788fa5, v38, -v110
	v_fmac_f32_e32 v133, 0xbf3f9e67, v34
	v_fma_f32 v9, 0x3df6dbef, v41, -v134
	v_dual_add_f32 v79, v108, v104 :: v_dual_add_f32 v6, v7, v6
	s_delay_alu instid0(VALU_DEP_4) | instskip(SKIP_1) | instid1(VALU_DEP_2)
	v_dual_add_f32 v86, v103, v86 :: v_dual_add_f32 v7, v118, v8
	v_fmac_f32_e32 v137, 0xbeb58ec6, v38
	v_add_f32_e32 v78, v88, v86
	v_fma_f32 v86, 0x3f62ad3f, v36, -v100
	v_add_f32_e32 v88, v97, v94
	v_mul_f32_e32 v94, 0xbf6f5d39, v67
	v_fma_f32 v97, 0xbeb58ec6, v31, -v56
	v_fmac_f32_e32 v56, 0xbeb58ec6, v31
	v_add_f32_e32 v66, v86, v66
	v_fma_f32 v86, 0x3f116cb1, v38, -v101
	v_dual_fmamk_f32 v96, v32, 0xbeb58ec6, v94 :: v_dual_add_f32 v67, v99, v88
	v_dual_fmamk_f32 v88, v35, 0xbf788fa5, v69 :: v_dual_add_f32 v7, v133, v7
	s_delay_alu instid0(VALU_DEP_3) | instskip(NEXT) | instid1(VALU_DEP_3)
	v_add_f32_e32 v66, v86, v66
	v_add_f32_e32 v86, v96, v93
	v_fma_f32 v96, 0x3f116cb1, v30, -v54
	v_fma_f32 v93, 0xbf3f9e67, v40, -v102
	v_dual_fmac_f32 v54, 0x3f116cb1, v30 :: v_dual_add_f32 v7, v135, v7
	s_delay_alu instid0(VALU_DEP_4) | instskip(SKIP_3) | instid1(VALU_DEP_3)
	v_add_f32_e32 v86, v88, v86
	v_fmamk_f32 v88, v37, 0xbf3f9e67, v68
	v_add_f32_e32 v96, v96, v0
	v_add_f32_e32 v66, v93, v66
	v_dual_add_f32 v7, v137, v7 :: v_dual_add_f32 v86, v88, v86
	v_fmamk_f32 v88, v39, 0x3df6dbef, v70
	s_delay_alu instid0(VALU_DEP_4) | instskip(SKIP_2) | instid1(VALU_DEP_4)
	v_add_f32_e32 v96, v97, v96
	v_fma_f32 v97, 0xbf788fa5, v34, -v63
	v_fmac_f32_e32 v63, 0xbf788fa5, v34
	v_dual_add_f32 v3, v17, v16 :: v_dual_add_f32 v86, v88, v86
	v_fmamk_f32 v88, v41, 0x3f62ad3f, v71
	s_delay_alu instid0(VALU_DEP_4) | instskip(SKIP_1) | instid1(VALU_DEP_3)
	v_add_f32_e32 v93, v97, v96
	v_fma_f32 v96, 0xbf3f9e67, v36, -v64
	v_dual_fmac_f32 v64, 0xbf3f9e67, v36 :: v_dual_add_f32 v51, v88, v86
	v_fma_f32 v8, 0xbeb58ec6, v32, -v94
	s_delay_alu instid0(VALU_DEP_3) | instskip(NEXT) | instid1(VALU_DEP_1)
	v_add_f32_e32 v86, v96, v93
	v_dual_add_f32 v1, v8, v1 :: v_dual_add_f32 v20, v83, v86
	v_fma_f32 v8, 0xbf788fa5, v35, -v69
	s_delay_alu instid0(VALU_DEP_2) | instskip(SKIP_1) | instid1(VALU_DEP_3)
	v_add_f32_e32 v50, v23, v20
	v_sub_f32_e32 v20, v80, v42
	v_add_f32_e32 v1, v8, v1
	v_fma_f32 v8, 0xbf3f9e67, v37, -v68
	s_delay_alu instid0(VALU_DEP_3) | instskip(NEXT) | instid1(VALU_DEP_2)
	v_add_f32_e32 v19, v20, v0
	v_dual_add_f32 v0, v54, v0 :: v_dual_add_f32 v1, v8, v1
	v_fma_f32 v8, 0x3df6dbef, v39, -v70
	s_delay_alu instid0(VALU_DEP_3) | instskip(NEXT) | instid1(VALU_DEP_3)
	v_dual_add_f32 v12, v13, v19 :: v_dual_sub_f32 v13, v84, v44
	v_add_f32_e32 v0, v56, v0
	s_delay_alu instid0(VALU_DEP_3) | instskip(NEXT) | instid1(VALU_DEP_3)
	v_dual_add_f32 v8, v8, v1 :: v_dual_add_f32 v1, v9, v6
	v_dual_add_f32 v12, v13, v12 :: v_dual_sub_f32 v13, v59, v45
	s_delay_alu instid0(VALU_DEP_3) | instskip(NEXT) | instid1(VALU_DEP_2)
	v_add_f32_e32 v0, v63, v0
	v_add_f32_e32 v12, v13, v12
	s_delay_alu instid0(VALU_DEP_2) | instskip(NEXT) | instid1(VALU_DEP_1)
	v_dual_sub_f32 v13, v57, v46 :: v_dual_add_f32 v0, v64, v0
	v_add_f32_e32 v10, v13, v12
	s_delay_alu instid0(VALU_DEP_2) | instskip(SKIP_1) | instid1(VALU_DEP_3)
	v_add_f32_e32 v12, v65, v0
	v_add_f32_e32 v0, v132, v7
	;; [unrolled: 1-line block ×3, first 2 shown]
	v_and_b32_e32 v10, 0xffff, v92
	v_fma_f32 v11, 0x3f62ad3f, v41, -v71
	v_add_f32_e32 v6, v21, v12
	s_delay_alu instid0(VALU_DEP_2)
	v_dual_add_f32 v7, v11, v8 :: v_dual_lshlrev_b32 v10, 3, v10
	ds_store_2addr_b64 v10, v[4:5], v[2:3] offset1:1
	ds_store_2addr_b64 v10, v[50:51], v[66:67] offset0:2 offset1:3
	ds_store_2addr_b64 v10, v[78:79], v[76:77] offset0:4 offset1:5
	;; [unrolled: 1-line block ×5, first 2 shown]
	ds_store_b64 v10, v[61:62] offset:96
.LBB0_7:
	s_wait_alu 0xfffe
	s_or_b32 exec_lo, exec_lo, s4
	v_and_b32_e32 v16, 0xff, v90
	v_add_co_u32 v40, null, 0x9c, v90
	v_add_co_u32 v1, null, 0x1d4, v90
	s_delay_alu instid0(VALU_DEP_3) | instskip(NEXT) | instid1(VALU_DEP_3)
	v_mul_lo_u16 v0, 0x4f, v16
	v_and_b32_e32 v20, 0xffff, v40
	v_add_co_u32 v41, null, 0x138, v90
	s_delay_alu instid0(VALU_DEP_4) | instskip(NEXT) | instid1(VALU_DEP_4)
	v_and_b32_e32 v2, 0xffff, v1
	v_lshrrev_b16 v32, 10, v0
	s_delay_alu instid0(VALU_DEP_4)
	v_mul_u32_u24_e32 v0, 0x4ec5, v20
	s_load_b128 s[4:7], s[2:3], 0x0
	global_wb scope:SCOPE_SE
	s_wait_dscnt 0x0
	s_wait_kmcnt 0x0
	s_barrier_signal -1
	v_mul_lo_u16 v3, v32, 13
	v_lshrrev_b32_e32 v42, 18, v0
	v_mul_u32_u24_e32 v0, 0x4ec5, v2
	s_barrier_wait -1
	global_inv scope:SCOPE_SE
	v_sub_nc_u16 v2, v90, v3
	v_mul_lo_u16 v3, v42, 13
	v_lshrrev_b32_e32 v44, 18, v0
	v_mul_lo_u16 v22, 0xa5, v16
	v_mul_u32_u24_e32 v33, 0xa41b, v20
	v_and_b32_e32 v45, 0xff, v2
	v_sub_nc_u16 v46, v40, v3
	v_mul_lo_u16 v2, v44, 13
	v_lshrrev_b16 v49, 8, v22
	v_lshrrev_b32_e32 v50, 16, v33
	v_lshlrev_b32_e32 v3, 4, v45
	v_mad_u16 v42, v42, 39, v46
	v_sub_nc_u16 v48, v1, v2
	v_sub_nc_u16 v36, v90, v49
	;; [unrolled: 1-line block ×3, first 2 shown]
	global_load_b128 v[8:11], v3, s[0:1]
	v_and_b32_e32 v21, 0xffff, v41
	v_lshlrev_b16 v2, 1, v48
	v_lshrrev_b16 v52, 1, v36
	v_lshrrev_b16 v53, 1, v53
	v_mad_u16 v44, v44, 39, v48
	v_mul_u32_u24_e32 v4, 0x4ec5, v21
	v_and_b32_e32 v2, 0xffff, v2
	v_mul_u32_u24_e32 v34, 0xa41b, v21
	s_delay_alu instid0(VALU_DEP_3) | instskip(NEXT) | instid1(VALU_DEP_2)
	v_lshrrev_b32_e32 v43, 18, v4
	v_lshrrev_b32_e32 v51, 16, v34
	s_delay_alu instid0(VALU_DEP_2) | instskip(NEXT) | instid1(VALU_DEP_2)
	v_mul_lo_u16 v0, v43, 13
	v_sub_nc_u16 v54, v41, v51
	s_delay_alu instid0(VALU_DEP_2) | instskip(SKIP_1) | instid1(VALU_DEP_3)
	v_sub_nc_u16 v47, v41, v0
	v_lshlrev_b16 v0, 1, v46
	v_lshrrev_b16 v54, 1, v54
	v_add_nc_u16 v46, v53, v50
	s_delay_alu instid0(VALU_DEP_4) | instskip(NEXT) | instid1(VALU_DEP_4)
	v_lshlrev_b16 v1, 1, v47
	v_and_b32_e32 v0, 0xffff, v0
	v_mad_u16 v43, v43, 39, v47
	v_add_nc_u16 v47, v54, v51
	v_lshrrev_b16 v46, 5, v46
	s_delay_alu instid0(VALU_DEP_4) | instskip(NEXT) | instid1(VALU_DEP_3)
	v_lshlrev_b32_e32 v0, 3, v0
	v_lshrrev_b16 v47, 5, v47
	global_load_b128 v[12:15], v0, s[0:1]
	v_and_b32_e32 v1, 0xffff, v1
	v_lshlrev_b32_e32 v0, 3, v2
	v_and_b32_e32 v17, 0xffff, v90
	v_mul_lo_u16 v48, v47, 39
	s_delay_alu instid0(VALU_DEP_4)
	v_lshlrev_b32_e32 v1, 3, v1
	s_clause 0x1
	global_load_b128 v[4:7], v1, s[0:1]
	global_load_b128 v[0:3], v0, s[0:1]
	v_lshlrev_b32_e32 v91, 3, v17
	v_sub_nc_u16 v48, v41, v48
	s_delay_alu instid0(VALU_DEP_2)
	v_add_nc_u32_e32 v83, 0x1200, v91
	ds_load_2addr_b64 v[16:19], v91 offset1:156
	v_add_nc_u32_e32 v85, 0x2400, v91
	v_add_nc_u32_e32 v84, 0x800, v91
	ds_load_2addr_b64 v[20:23], v83 offset0:48 offset1:204
	ds_load_2addr_b64 v[24:27], v85 offset0:96 offset1:252
	;; [unrolled: 1-line block ×3, first 2 shown]
	v_add_nc_u32_e32 v86, 0x3000, v91
	s_wait_loadcnt_dscnt 0x301
	v_dual_mul_f32 v54, v24, v11 :: v_dual_mul_f32 v51, v21, v9
	v_mul_f32_e32 v53, v25, v11
	s_delay_alu instid0(VALU_DEP_2) | instskip(NEXT) | instid1(VALU_DEP_1)
	v_dual_fmac_f32 v54, v25, v10 :: v_dual_and_b32 v37, 0xffff, v32
	v_mul_u32_u24_e32 v55, 39, v37
	ds_load_2addr_b64 v[36:39], v86 offset0:24 offset1:180
	v_and_b32_e32 v52, 0x7f, v52
	v_add_lshl_u32 v95, v55, v45, 3
	s_wait_loadcnt 0x2
	v_mul_f32_e32 v25, v22, v13
	s_delay_alu instid0(VALU_DEP_1)
	v_fmac_f32_e32 v25, v23, v12
	s_wait_loadcnt_dscnt 0x100
	v_mul_f32_e32 v57, v37, v7
	s_wait_loadcnt 0x0
	v_mul_f32_e32 v65, v38, v3
	v_add_nc_u16 v45, v52, v49
	v_mul_f32_e32 v52, v20, v9
	v_mul_f32_e32 v64, v39, v3
	v_fma_f32 v20, v20, v8, -v51
	v_mul_f32_e32 v51, v27, v15
	v_lshrrev_b16 v45, 5, v45
	v_dual_fmac_f32 v52, v21, v8 :: v_dual_add_nc_u32 v87, 0x1c00, v91
	v_fma_f32 v21, v24, v10, -v53
	v_and_b32_e32 v42, 0xffff, v42
	s_delay_alu instid0(VALU_DEP_3)
	v_dual_sub_f32 v68, v52, v54 :: v_dual_and_b32 v43, 0xffff, v43
	ds_load_2addr_b64 v[32:35], v87 offset0:40 offset1:196
	v_dual_sub_f32 v70, v20, v21 :: v_dual_mul_f32 v53, v26, v15
	v_and_b32_e32 v44, 0xffff, v44
	v_add_f32_e32 v66, v16, v20
	v_add_f32_e32 v67, v20, v21
	v_lshlrev_b32_e32 v97, 3, v42
	v_mul_lo_u16 v42, v46, 39
	v_dual_add_f32 v69, v17, v52 :: v_dual_lshlrev_b32 v96, 3, v43
	v_mul_f32_e32 v24, v23, v13
	v_dual_fmac_f32 v53, v27, v14 :: v_dual_lshlrev_b32 v94, 3, v44
	v_fmac_f32_e32 v65, v39, v2
	v_sub_nc_u16 v44, v40, v42
	v_mul_lo_u16 v42, v48, 24
	v_add_f32_e32 v52, v52, v54
	v_mul_f32_e32 v58, v36, v7
	v_fma_f32 v24, v22, v12, -v24
	v_mul_lo_u16 v41, v44, 24
	s_wait_dscnt 0x0
	v_mul_f32_e32 v56, v32, v5
	v_and_b32_e32 v45, 7, v45
	v_mul_f32_e32 v55, v33, v5
	v_mul_f32_e32 v59, v35, v1
	v_fma_f32 v26, v26, v14, -v51
	v_fmac_f32_e32 v56, v33, v4
	v_mul_lo_u16 v43, v45, 39
	v_dual_mul_f32 v63, v34, v1 :: v_dual_and_b32 v50, 0xffff, v42
	v_fma_f32 v27, v32, v4, -v55
	v_fma_f32 v32, v36, v6, -v57
	s_delay_alu instid0(VALU_DEP_4)
	v_sub_nc_u16 v40, v90, v43
	v_fma_f32 v33, v34, v0, -v59
	v_fma_f32 v34, v38, v2, -v64
	v_fma_f32 v17, -0.5, v52, v17
	v_dual_add_f32 v36, v24, v26 :: v_dual_and_b32 v43, 0xffff, v41
	v_dual_fmac_f32 v58, v37, v6 :: v_dual_and_b32 v49, 0xff, v40
	v_fma_f32 v16, -0.5, v67, v16
	v_dual_fmac_f32 v63, v35, v0 :: v_dual_add_f32 v20, v66, v21
	v_dual_fmamk_f32 v23, v70, 0xbf5db3d7, v17 :: v_dual_add_f32 v38, v19, v25
	v_dual_fmac_f32 v17, 0x3f5db3d7, v70 :: v_dual_add_f32 v52, v28, v27
	v_add_f32_e32 v35, v18, v24
	v_add_f32_e32 v39, v25, v53
	v_dual_sub_f32 v59, v27, v32 :: v_dual_add_f32 v66, v33, v34
	v_add_f32_e32 v21, v69, v54
	v_dual_sub_f32 v37, v25, v53 :: v_dual_add_f32 v54, v27, v32
	v_add_f32_e32 v57, v29, v56
	v_fma_f32 v18, -0.5, v36, v18
	v_sub_f32_e32 v55, v56, v58
	v_add_f32_e32 v56, v56, v58
	v_fmamk_f32 v22, v68, 0x3f5db3d7, v16
	v_dual_fmac_f32 v16, 0xbf5db3d7, v68 :: v_dual_sub_f32 v51, v24, v26
	v_add_f32_e32 v64, v30, v33
	v_sub_f32_e32 v67, v63, v65
	v_add_f32_e32 v68, v31, v63
	v_add_f32_e32 v63, v63, v65
	v_add_f32_e32 v24, v35, v26
	v_add_f32_e32 v26, v52, v32
	v_add_f32_e32 v32, v64, v34
	v_fma_f32 v30, -0.5, v66, v30
	v_fmac_f32_e32 v19, -0.5, v39
	v_fma_f32 v28, -0.5, v54, v28
	v_fma_f32 v29, -0.5, v56, v29
	v_sub_f32_e32 v69, v33, v34
	v_fmac_f32_e32 v31, -0.5, v63
	global_wb scope:SCOPE_SE
	s_barrier_signal -1
	s_barrier_wait -1
	global_inv scope:SCOPE_SE
	ds_store_2addr_b64 v95, v[20:21], v[22:23] offset1:13
	ds_store_b64 v95, v[16:17] offset:208
	v_dual_fmamk_f32 v16, v37, 0x3f5db3d7, v18 :: v_dual_add_f32 v25, v38, v53
	v_fmamk_f32 v20, v55, 0x3f5db3d7, v28
	v_fmamk_f32 v22, v67, 0x3f5db3d7, v30
	v_dual_fmamk_f32 v17, v51, 0xbf5db3d7, v19 :: v_dual_fmac_f32 v18, 0xbf5db3d7, v37
	v_fmac_f32_e32 v19, 0x3f5db3d7, v51
	v_dual_add_f32 v27, v57, v58 :: v_dual_fmac_f32 v28, 0xbf5db3d7, v55
	v_fmamk_f32 v21, v59, 0xbf5db3d7, v29
	v_mad_co_u64_u32 v[40:41], null, v49, 24, s[0:1]
	v_add_co_u32 v42, s2, s0, v43
	v_fmac_f32_e32 v29, 0x3f5db3d7, v59
	v_dual_add_f32 v33, v68, v65 :: v_dual_fmac_f32 v30, 0xbf5db3d7, v67
	v_fmamk_f32 v23, v69, 0xbf5db3d7, v31
	s_wait_alu 0xf1ff
	v_add_co_ci_u32_e64 v43, null, s1, 0, s2
	v_fmac_f32_e32 v31, 0x3f5db3d7, v69
	ds_store_2addr_b64 v97, v[24:25], v[16:17] offset1:13
	ds_store_b64 v97, v[18:19] offset:208
	ds_store_2addr_b64 v96, v[26:27], v[20:21] offset1:13
	ds_store_b64 v96, v[28:29] offset:208
	;; [unrolled: 2-line block ×3, first 2 shown]
	v_add_co_u32 v28, s2, s0, v50
	s_wait_alu 0xf1ff
	v_add_co_ci_u32_e64 v29, null, s1, 0, s2
	global_wb scope:SCOPE_SE
	s_wait_dscnt 0x0
	s_barrier_signal -1
	s_barrier_wait -1
	global_inv scope:SCOPE_SE
	s_clause 0x5
	global_load_b128 v[24:27], v[40:41], off offset:208
	global_load_b64 v[67:68], v[40:41], off offset:224
	global_load_b128 v[20:23], v[42:43], off offset:208
	global_load_b64 v[65:66], v[42:43], off offset:224
	;; [unrolled: 2-line block ×3, first 2 shown]
	v_and_b32_e32 v40, 0xffff, v45
	v_mad_u16 v44, 0x9c, v46, v44
	v_mad_u16 v45, 0x9c, v47, v48
	ds_load_2addr_b64 v[28:31], v84 offset0:56 offset1:212
	ds_load_2addr_b64 v[32:35], v87 offset0:40 offset1:196
	ds_load_2addr_b64 v[36:39], v85 offset0:96 offset1:252
	v_and_b32_e32 v50, 0xffff, v44
	v_and_b32_e32 v51, 0xffff, v45
	ds_load_2addr_b64 v[44:47], v86 offset0:24 offset1:180
	v_mul_u32_u24_e32 v48, 0x9c, v40
	ds_load_2addr_b64 v[40:43], v83 offset0:48 offset1:204
	v_mad_co_u64_u32 v[56:57], null, v90, 40, s[0:1]
	v_add_lshl_u32 v100, v48, v49, 3
	s_wait_loadcnt_dscnt 0x201
	v_dual_mul_f32 v53, v30, v25 :: v_dual_mul_f32 v74, v44, v66
	s_wait_loadcnt_dscnt 0x100
	v_dual_mul_f32 v76, v42, v17 :: v_dual_lshlrev_b32 v99, 3, v50
	v_lshlrev_b32_e32 v98, 3, v51
	ds_load_2addr_b64 v[48:51], v91 offset1:156
	v_mul_f32_e32 v72, v34, v23
	v_mul_f32_e32 v52, v31, v25
	;; [unrolled: 1-line block ×3, first 2 shown]
	s_wait_loadcnt 0x0
	v_dual_mul_f32 v55, v32, v27 :: v_dual_mul_f32 v80, v46, v64
	v_mul_f32_e32 v58, v39, v68
	v_dual_mul_f32 v59, v38, v68 :: v_dual_mul_f32 v78, v36, v19
	v_dual_mul_f32 v69, v41, v21 :: v_dual_fmac_f32 v72, v35, v22
	v_dual_mul_f32 v70, v40, v21 :: v_dual_mul_f32 v71, v35, v23
	v_dual_mul_f32 v73, v45, v66 :: v_dual_fmac_f32 v76, v43, v16
	s_delay_alu instid0(VALU_DEP_4)
	v_dual_mul_f32 v75, v43, v17 :: v_dual_fmac_f32 v78, v37, v18
	v_mul_f32_e32 v77, v37, v19
	v_dual_mul_f32 v79, v47, v64 :: v_dual_fmac_f32 v74, v45, v65
	v_fma_f32 v30, v30, v24, -v52
	v_dual_fmac_f32 v55, v33, v26 :: v_dual_fmac_f32 v80, v47, v63
	v_fmac_f32_e32 v53, v31, v24
	v_fma_f32 v31, v32, v26, -v54
	v_fma_f32 v32, v38, v67, -v58
	;; [unrolled: 1-line block ×3, first 2 shown]
	s_wait_dscnt 0x0
	v_sub_f32_e32 v40, v49, v55
	v_fmac_f32_e32 v70, v41, v20
	v_fma_f32 v34, v34, v22, -v71
	v_fma_f32 v35, v44, v65, -v73
	;; [unrolled: 1-line block ×4, first 2 shown]
	v_sub_f32_e32 v42, v51, v72
	v_fma_f32 v36, v36, v18, -v77
	v_fmac_f32_e32 v59, v39, v67
	v_sub_f32_e32 v39, v48, v31
	v_dual_sub_f32 v41, v50, v34 :: v_dual_sub_f32 v34, v33, v35
	s_delay_alu instid0(VALU_DEP_4) | instskip(NEXT) | instid1(VALU_DEP_4)
	v_sub_f32_e32 v44, v28, v36
	v_dual_sub_f32 v31, v30, v32 :: v_dual_sub_f32 v32, v53, v59
	v_sub_f32_e32 v36, v38, v37
	v_sub_f32_e32 v35, v70, v74
	;; [unrolled: 1-line block ×3, first 2 shown]
	v_fma_f32 v46, v48, 2.0, -v39
	v_fma_f32 v43, v30, 2.0, -v31
	;; [unrolled: 1-line block ×3, first 2 shown]
	v_sub_f32_e32 v30, v39, v32
	v_sub_f32_e32 v32, v41, v35
	;; [unrolled: 1-line block ×3, first 2 shown]
	v_fma_f32 v47, v49, 2.0, -v40
	v_fma_f32 v49, v50, 2.0, -v41
	;; [unrolled: 1-line block ×5, first 2 shown]
	v_add_f32_e32 v31, v40, v31
	v_add_f32_e32 v33, v42, v34
	v_fma_f32 v53, v28, 2.0, -v44
	v_fma_f32 v55, v38, 2.0, -v36
	v_sub_f32_e32 v38, v49, v51
	v_fma_f32 v58, v76, 2.0, -v37
	v_sub_f32_e32 v28, v44, v37
	v_fma_f32 v54, v29, 2.0, -v45
	v_dual_add_f32 v29, v45, v36 :: v_dual_sub_f32 v34, v46, v43
	v_sub_f32_e32 v35, v47, v48
	v_fma_f32 v36, v39, 2.0, -v30
	v_sub_f32_e32 v39, v50, v52
	v_sub_f32_e32 v43, v54, v58
	v_lshlrev_b32_e32 v58, 5, v90
	v_fma_f32 v37, v40, 2.0, -v31
	v_fma_f32 v40, v41, 2.0, -v32
	;; [unrolled: 1-line block ×3, first 2 shown]
	v_sub_f32_e32 v42, v53, v55
	v_fma_f32 v46, v46, 2.0, -v34
	v_fma_f32 v47, v47, 2.0, -v35
	;; [unrolled: 1-line block ×8, first 2 shown]
	global_wb scope:SCOPE_SE
	s_barrier_signal -1
	s_barrier_wait -1
	global_inv scope:SCOPE_SE
	ds_store_2addr_b64 v100, v[34:35], v[30:31] offset0:78 offset1:117
	ds_store_2addr_b64 v100, v[46:47], v[36:37] offset1:39
	ds_store_2addr_b64 v99, v[48:49], v[40:41] offset1:39
	ds_store_2addr_b64 v99, v[38:39], v[32:33] offset0:78 offset1:117
	ds_store_2addr_b64 v98, v[50:51], v[44:45] offset1:39
	ds_store_2addr_b64 v98, v[42:43], v[28:29] offset0:78 offset1:117
	global_wb scope:SCOPE_SE
	s_wait_dscnt 0x0
	s_barrier_signal -1
	s_barrier_wait -1
	global_inv scope:SCOPE_SE
	s_clause 0x2
	global_load_b128 v[32:35], v[56:57], off offset:1144
	global_load_b128 v[28:31], v[56:57], off offset:1160
	global_load_b64 v[69:70], v[56:57], off offset:1176
	ds_load_2addr_b64 v[36:39], v84 offset0:56 offset1:212
	ds_load_2addr_b64 v[40:43], v83 offset0:48 offset1:204
	ds_load_2addr_b64 v[44:47], v87 offset0:40 offset1:196
	ds_load_2addr_b64 v[48:51], v85 offset0:96 offset1:252
	ds_load_2addr_b64 v[52:55], v86 offset0:24 offset1:180
	v_sub_co_u32 v75, s0, v56, v58
	s_wait_alu 0xf1ff
	v_subrev_co_ci_u32_e64 v76, s0, 0, v57, s0
	ds_load_2addr_b64 v[56:59], v91 offset1:156
	global_wb scope:SCOPE_SE
	s_wait_loadcnt_dscnt 0x0
	s_barrier_signal -1
	s_barrier_wait -1
	global_inv scope:SCOPE_SE
	v_dual_mul_f32 v74, v40, v35 :: v_dual_mul_f32 v71, v37, v33
	v_mul_f32_e32 v80, v48, v31
	v_dual_mul_f32 v73, v41, v35 :: v_dual_mul_f32 v78, v44, v29
	v_mul_f32_e32 v72, v36, v33
	v_dual_mul_f32 v77, v45, v29 :: v_dual_mul_f32 v82, v52, v70
	v_dual_mul_f32 v79, v49, v31 :: v_dual_mul_f32 v88, v39, v33
	;; [unrolled: 1-line block ×3, first 2 shown]
	s_delay_alu instid0(VALU_DEP_4)
	v_dual_mul_f32 v93, v38, v33 :: v_dual_fmac_f32 v72, v37, v32
	v_fma_f32 v71, v36, v32, -v71
	v_fma_f32 v36, v40, v34, -v73
	v_dual_mul_f32 v101, v43, v35 :: v_dual_mul_f32 v104, v46, v29
	v_dual_mul_f32 v103, v47, v29 :: v_dual_mul_f32 v106, v50, v31
	;; [unrolled: 1-line block ×3, first 2 shown]
	v_dual_mul_f32 v107, v55, v70 :: v_dual_fmac_f32 v78, v45, v28
	v_dual_fmac_f32 v74, v41, v34 :: v_dual_fmac_f32 v93, v39, v32
	v_fma_f32 v37, v44, v28, -v77
	v_fma_f32 v40, v48, v30, -v79
	v_dual_fmac_f32 v80, v49, v30 :: v_dual_add_f32 v45, v56, v36
	v_fma_f32 v41, v52, v69, -v81
	v_fmac_f32_e32 v82, v53, v69
	s_delay_alu instid0(VALU_DEP_3)
	v_dual_fmac_f32 v102, v43, v34 :: v_dual_add_f32 v49, v74, v80
	v_fma_f32 v39, v46, v28, -v103
	v_fmac_f32_e32 v104, v47, v28
	v_fmac_f32_e32 v106, v51, v30
	v_fma_f32 v43, v54, v69, -v107
	v_dual_fmac_f32 v108, v55, v69 :: v_dual_add_f32 v53, v72, v78
	v_fma_f32 v44, v38, v32, -v88
	v_fma_f32 v38, v42, v34, -v101
	;; [unrolled: 1-line block ×3, first 2 shown]
	v_add_f32_e32 v46, v36, v40
	v_sub_f32_e32 v47, v74, v80
	v_add_f32_e32 v51, v37, v41
	v_add_f32_e32 v55, v58, v38
	v_dual_add_f32 v54, v78, v82 :: v_dual_sub_f32 v103, v39, v43
	v_dual_add_f32 v48, v57, v74 :: v_dual_add_f32 v81, v39, v43
	v_dual_add_f32 v50, v71, v37 :: v_dual_sub_f32 v79, v38, v42
	v_dual_sub_f32 v52, v78, v82 :: v_dual_add_f32 v101, v93, v104
	v_dual_sub_f32 v37, v37, v41 :: v_dual_sub_f32 v74, v102, v106
	v_add_f32_e32 v77, v59, v102
	v_dual_add_f32 v78, v102, v106 :: v_dual_fmac_f32 v71, -0.5, v51
	v_add_f32_e32 v102, v104, v108
	v_dual_sub_f32 v36, v36, v40 :: v_dual_add_f32 v73, v38, v42
	v_add_f32_e32 v38, v44, v39
	v_fma_f32 v56, -0.5, v46, v56
	v_fmac_f32_e32 v72, -0.5, v54
	v_fma_f32 v57, -0.5, v49, v57
	v_dual_sub_f32 v88, v104, v108 :: v_dual_add_f32 v41, v50, v41
	v_add_f32_e32 v39, v45, v40
	v_dual_add_f32 v40, v48, v80 :: v_dual_fmac_f32 v59, -0.5, v78
	v_dual_add_f32 v45, v53, v82 :: v_dual_fmac_f32 v44, -0.5, v81
	v_fmac_f32_e32 v93, -0.5, v102
	v_dual_add_f32 v42, v55, v42 :: v_dual_fmamk_f32 v51, v36, 0xbf5db3d7, v57
	v_fma_f32 v58, -0.5, v73, v58
	v_dual_add_f32 v46, v77, v106 :: v_dual_fmamk_f32 v49, v47, 0x3f5db3d7, v56
	v_dual_add_f32 v43, v38, v43 :: v_dual_add_f32 v48, v101, v108
	v_fmac_f32_e32 v56, 0xbf5db3d7, v47
	v_fmamk_f32 v47, v52, 0x3f5db3d7, v71
	v_dual_fmac_f32 v71, 0xbf5db3d7, v52 :: v_dual_fmamk_f32 v50, v37, 0xbf5db3d7, v72
	v_dual_fmac_f32 v57, 0x3f5db3d7, v36 :: v_dual_fmac_f32 v72, 0x3f5db3d7, v37
	v_dual_add_f32 v36, v39, v41 :: v_dual_fmamk_f32 v73, v74, 0x3f5db3d7, v58
	v_add_f32_e32 v37, v40, v45
	v_sub_f32_e32 v38, v39, v41
	v_dual_sub_f32 v39, v40, v45 :: v_dual_fmac_f32 v58, 0xbf5db3d7, v74
	v_dual_fmamk_f32 v45, v88, 0x3f5db3d7, v44 :: v_dual_add_f32 v40, v42, v43
	v_dual_fmac_f32 v44, 0xbf5db3d7, v88 :: v_dual_mul_f32 v53, -0.5, v71
	v_fmamk_f32 v52, v103, 0xbf5db3d7, v93
	v_fmac_f32_e32 v93, 0x3f5db3d7, v103
	v_dual_fmamk_f32 v74, v79, 0xbf5db3d7, v59 :: v_dual_add_f32 v41, v46, v48
	v_dual_sub_f32 v42, v42, v43 :: v_dual_mul_f32 v55, -0.5, v72
	v_dual_sub_f32 v43, v46, v48 :: v_dual_mul_f32 v48, 0x3f5db3d7, v50
	v_mul_f32_e32 v54, 0xbf5db3d7, v47
	v_fmac_f32_e32 v59, 0x3f5db3d7, v79
	v_mul_f32_e32 v79, 0xbf5db3d7, v45
	v_dual_mul_f32 v77, 0x3f5db3d7, v52 :: v_dual_mul_f32 v80, -0.5, v93
	v_dual_mul_f32 v78, -0.5, v44 :: v_dual_fmac_f32 v55, 0xbf5db3d7, v71
	v_dual_fmac_f32 v48, 0.5, v47 :: v_dual_fmac_f32 v53, 0x3f5db3d7, v72
	s_delay_alu instid0(VALU_DEP_3) | instskip(NEXT) | instid1(VALU_DEP_3)
	v_dual_fmac_f32 v54, 0.5, v50 :: v_dual_fmac_f32 v77, 0.5, v45
	v_dual_fmac_f32 v78, 0x3f5db3d7, v93 :: v_dual_fmac_f32 v79, 0.5, v52
	s_delay_alu instid0(VALU_DEP_2) | instskip(NEXT) | instid1(VALU_DEP_4)
	v_dual_fmac_f32 v80, 0xbf5db3d7, v44 :: v_dual_add_f32 v45, v51, v54
	v_add_f32_e32 v44, v49, v48
	v_dual_add_f32 v46, v56, v53 :: v_dual_add_f32 v47, v57, v55
	v_sub_f32_e32 v48, v49, v48
	v_dual_sub_f32 v50, v56, v53 :: v_dual_sub_f32 v49, v51, v54
	v_sub_f32_e32 v51, v57, v55
	v_dual_add_f32 v52, v73, v77 :: v_dual_add_f32 v55, v59, v80
	v_add_f32_e32 v53, v74, v79
	v_dual_add_f32 v54, v58, v78 :: v_dual_sub_f32 v59, v59, v80
	v_dual_sub_f32 v56, v73, v77 :: v_dual_sub_f32 v57, v74, v79
	v_sub_f32_e32 v58, v58, v78
	ds_store_2addr_b64 v91, v[36:37], v[44:45] offset1:156
	ds_store_2addr_b64 v84, v[46:47], v[38:39] offset0:56 offset1:212
	ds_store_2addr_b64 v83, v[48:49], v[50:51] offset0:48 offset1:204
	;; [unrolled: 1-line block ×5, first 2 shown]
	global_wb scope:SCOPE_SE
	s_wait_dscnt 0x0
	s_barrier_signal -1
	s_barrier_wait -1
	global_inv scope:SCOPE_SE
	s_clause 0x5
	global_load_b64 v[77:78], v[75:76], off offset:7384
	global_load_b64 v[81:82], v[75:76], off offset:8632
	;; [unrolled: 1-line block ×6, first 2 shown]
	ds_load_2addr_b64 v[36:39], v87 offset0:40 offset1:196
	ds_load_2addr_b64 v[40:43], v85 offset0:96 offset1:252
	ds_load_2addr_b64 v[44:47], v86 offset0:24 offset1:180
	ds_load_2addr_b64 v[101:104], v91 offset1:156
	ds_load_2addr_b64 v[105:108], v84 offset0:56 offset1:212
	ds_load_2addr_b64 v[109:112], v83 offset0:48 offset1:204
	v_lshlrev_b32_e32 v93, 3, v90
	s_wait_loadcnt_dscnt 0x505
	v_mul_f32_e32 v48, v37, v78
	v_mul_f32_e32 v49, v36, v78
	s_wait_loadcnt 0x4
	v_mul_f32_e32 v51, v38, v82
	s_wait_loadcnt_dscnt 0x204
	v_dual_mul_f32 v53, v40, v74 :: v_dual_mul_f32 v54, v43, v80
	s_wait_loadcnt_dscnt 0x3
	v_mul_f32_e32 v88, v46, v76
	v_mul_f32_e32 v56, v42, v80
	v_dual_mul_f32 v50, v39, v82 :: v_dual_fmac_f32 v49, v37, v77
	v_mul_f32_e32 v55, v45, v72
	v_mul_f32_e32 v57, v44, v72
	;; [unrolled: 1-line block ×3, first 2 shown]
	v_dual_mul_f32 v52, v41, v74 :: v_dual_fmac_f32 v51, v39, v81
	v_fma_f32 v36, v36, v77, -v48
	v_fma_f32 v37, v38, v81, -v50
	v_dual_fmac_f32 v53, v41, v73 :: v_dual_fmac_f32 v56, v43, v79
	s_delay_alu instid0(VALU_DEP_4)
	v_fma_f32 v40, v40, v73, -v52
	v_fma_f32 v41, v42, v79, -v54
	;; [unrolled: 1-line block ×3, first 2 shown]
	v_fmac_f32_e32 v57, v45, v71
	v_fma_f32 v43, v46, v75, -v58
	s_wait_dscnt 0x2
	v_sub_f32_e32 v58, v103, v37
	v_dual_fmac_f32 v88, v47, v75 :: v_dual_sub_f32 v39, v102, v49
	v_dual_sub_f32 v38, v101, v36 :: v_dual_sub_f32 v59, v104, v51
	s_wait_dscnt 0x1
	v_dual_sub_f32 v54, v105, v40 :: v_dual_sub_f32 v55, v106, v53
	v_dual_sub_f32 v50, v107, v41 :: v_dual_sub_f32 v51, v108, v56
	s_wait_dscnt 0x0
	v_dual_sub_f32 v46, v109, v42 :: v_dual_sub_f32 v47, v110, v57
	v_dual_sub_f32 v42, v111, v43 :: v_dual_sub_f32 v43, v112, v88
	v_fma_f32 v36, v101, 2.0, -v38
	v_fma_f32 v37, v102, 2.0, -v39
	;; [unrolled: 1-line block ×12, first 2 shown]
	ds_store_2addr_b64 v87, v[38:39], v[58:59] offset0:40 offset1:196
	ds_store_2addr_b64 v85, v[54:55], v[50:51] offset0:96 offset1:252
	;; [unrolled: 1-line block ×3, first 2 shown]
	ds_store_2addr_b64 v91, v[36:37], v[56:57] offset1:156
	ds_store_2addr_b64 v84, v[52:53], v[48:49] offset0:56 offset1:212
	ds_store_2addr_b64 v83, v[44:45], v[40:41] offset0:48 offset1:204
	global_wb scope:SCOPE_SE
	s_wait_dscnt 0x0
	s_barrier_signal -1
	s_barrier_wait -1
	global_inv scope:SCOPE_SE
	s_and_saveexec_b32 s2, vcc_lo
	s_cbranch_execz .LBB0_9
; %bb.8:
	global_load_b64 v[83:84], v89, s[8:9] offset:14976
	s_add_nc_u64 s[0:1], s[8:9], 0x3a80
	s_clause 0xb
	global_load_b64 v[87:88], v89, s[0:1] offset:1152
	global_load_b64 v[121:122], v89, s[0:1] offset:2304
	;; [unrolled: 1-line block ×12, first 2 shown]
	ds_load_b64 v[85:86], v91
	v_add_nc_u32_e32 v144, 0x400, v93
	v_add_nc_u32_e32 v145, 0xc00, v93
	;; [unrolled: 1-line block ×3, first 2 shown]
	s_wait_loadcnt_dscnt 0xc00
	v_mul_f32_e32 v101, v86, v84
	v_mul_f32_e32 v102, v85, v84
	s_delay_alu instid0(VALU_DEP_2) | instskip(NEXT) | instid1(VALU_DEP_2)
	v_fma_f32 v101, v85, v83, -v101
	v_fmac_f32_e32 v102, v86, v83
	ds_store_b64 v91, v[101:102]
	ds_load_2addr_b64 v[83:86], v144 offset0:16 offset1:160
	v_add_nc_u32_e32 v146, 0x1400, v93
	v_add_nc_u32_e32 v148, 0x2800, v93
	ds_load_2addr_b64 v[101:104], v145 offset0:48 offset1:192
	v_add_nc_u32_e32 v149, 0x3000, v93
	ds_load_2addr_b64 v[109:112], v147 offset0:48 offset1:192
	s_wait_loadcnt_dscnt 0xb02
	v_mul_f32_e32 v150, v84, v88
	v_mul_f32_e32 v143, v83, v88
	ds_load_2addr_b64 v[105:108], v146 offset0:80 offset1:224
	s_wait_loadcnt 0xa
	v_mul_f32_e32 v151, v86, v122
	ds_load_2addr_b64 v[113:116], v148 offset0:16 offset1:160
	ds_load_2addr_b64 v[117:120], v149 offset0:48 offset1:192
	v_dual_mul_f32 v88, v85, v122 :: v_dual_fmac_f32 v143, v84, v87
	s_wait_loadcnt_dscnt 0x804
	v_dual_mul_f32 v152, v102, v124 :: v_dual_mul_f32 v153, v104, v126
	v_mul_f32_e32 v122, v101, v124
	v_mul_f32_e32 v124, v103, v126
	s_wait_loadcnt_dscnt 0x503
	v_mul_f32_e32 v156, v110, v132
	s_wait_loadcnt 0x4
	v_dual_fmac_f32 v88, v86, v121 :: v_dual_mul_f32 v157, v112, v134
	v_fmac_f32_e32 v124, v104, v125
	s_wait_dscnt 0x2
	v_mul_f32_e32 v154, v106, v128
	s_wait_loadcnt_dscnt 0x201
	v_dual_mul_f32 v126, v105, v128 :: v_dual_mul_f32 v159, v116, v138
	v_mul_f32_e32 v155, v108, v130
	v_mul_f32_e32 v128, v107, v130
	;; [unrolled: 1-line block ×7, first 2 shown]
	s_wait_loadcnt_dscnt 0x100
	v_mul_f32_e32 v160, v118, v140
	s_wait_loadcnt 0x0
	v_dual_mul_f32 v138, v117, v140 :: v_dual_mul_f32 v161, v120, v142
	v_mul_f32_e32 v140, v119, v142
	v_fma_f32 v142, v83, v87, -v150
	v_fma_f32 v87, v85, v121, -v151
	;; [unrolled: 1-line block ×3, first 2 shown]
	v_fmac_f32_e32 v122, v102, v123
	v_fma_f32 v123, v103, v125, -v153
	v_fma_f32 v125, v105, v127, -v154
	v_fmac_f32_e32 v126, v106, v127
	v_fma_f32 v127, v107, v129, -v155
	v_fmac_f32_e32 v128, v108, v129
	;; [unrolled: 2-line block ×8, first 2 shown]
	ds_store_2addr_b64 v144, v[142:143], v[87:88] offset0:16 offset1:160
	ds_store_2addr_b64 v145, v[121:122], v[123:124] offset0:48 offset1:192
	;; [unrolled: 1-line block ×6, first 2 shown]
.LBB0_9:
	s_wait_alu 0xfffe
	s_or_b32 exec_lo, exec_lo, s2
	global_wb scope:SCOPE_SE
	s_wait_dscnt 0x0
	s_barrier_signal -1
	s_barrier_wait -1
	global_inv scope:SCOPE_SE
	s_and_saveexec_b32 s0, vcc_lo
	s_cbranch_execz .LBB0_11
; %bb.10:
	v_add_nc_u32_e32 v40, 0x800, v91
	v_add_nc_u32_e32 v41, 0x1000, v91
	;; [unrolled: 1-line block ×5, first 2 shown]
	ds_load_2addr_b64 v[36:39], v91 offset1:144
	ds_load_2addr_b64 v[56:59], v40 offset0:32 offset1:176
	ds_load_2addr_b64 v[52:55], v41 offset0:64 offset1:208
	;; [unrolled: 1-line block ×3, first 2 shown]
	ds_load_2addr_b64 v[44:47], v43 offset1:144
	ds_load_2addr_b64 v[40:43], v61 offset0:32 offset1:176
	ds_load_b64 v[61:62], v91 offset:13824
.LBB0_11:
	s_wait_alu 0xfffe
	s_or_b32 exec_lo, exec_lo, s0
	global_wb scope:SCOPE_SE
	s_wait_dscnt 0x0
	s_barrier_signal -1
	s_barrier_wait -1
	global_inv scope:SCOPE_SE
	s_and_saveexec_b32 s0, vcc_lo
	s_cbranch_execz .LBB0_13
; %bb.12:
	v_dual_sub_f32 v105, v38, v61 :: v_dual_add_f32 v124, v41, v59
	v_dual_add_f32 v121, v62, v39 :: v_dual_sub_f32 v102, v52, v46
	v_dual_sub_f32 v103, v56, v42 :: v_dual_sub_f32 v104, v54, v44
	s_delay_alu instid0(VALU_DEP_3) | instskip(NEXT) | instid1(VALU_DEP_2)
	v_dual_mul_f32 v117, 0xbf7e222b, v105 :: v_dual_sub_f32 v128, v57, v43
	v_dual_add_f32 v123, v43, v57 :: v_dual_mul_f32 v118, 0xbe750f2a, v103
	v_dual_sub_f32 v101, v58, v40 :: v_dual_add_f32 v126, v45, v55
	s_delay_alu instid0(VALU_DEP_3) | instskip(SKIP_1) | instid1(VALU_DEP_2)
	v_dual_fmamk_f32 v83, v121, 0x3df6dbef, v117 :: v_dual_add_f32 v108, v42, v56
	v_dual_add_f32 v125, v47, v53 :: v_dual_mul_f32 v120, 0x3eedf032, v102
	v_dual_fmamk_f32 v84, v123, 0xbf788fa5, v118 :: v_dual_add_f32 v83, v37, v83
	v_sub_f32_e32 v127, v39, v62
	v_dual_mul_f32 v119, 0x3f6f5d39, v101 :: v_dual_sub_f32 v106, v48, v50
	v_dual_add_f32 v107, v61, v38 :: v_dual_mul_f32 v122, 0xbf52af12, v104
	s_delay_alu instid0(VALU_DEP_4)
	v_dual_add_f32 v83, v84, v83 :: v_dual_mul_f32 v130, 0xbe750f2a, v128
	v_fmamk_f32 v84, v125, 0x3f62ad3f, v120
	v_mul_f32_e32 v129, 0xbf7e222b, v127
	v_dual_fmamk_f32 v85, v124, 0xbeb58ec6, v119 :: v_dual_sub_f32 v134, v53, v47
	v_sub_f32_e32 v131, v59, v41
	v_mul_f32_e32 v133, 0xbf29c268, v106
	s_delay_alu instid0(VALU_DEP_4) | instskip(SKIP_3) | instid1(VALU_DEP_4)
	v_fma_f32 v86, 0x3df6dbef, v107, -v129
	v_dual_add_f32 v135, v51, v49 :: v_dual_mul_f32 v116, 0x3f29c268, v103
	v_mul_f32_e32 v136, 0x3eedf032, v134
	v_dual_add_f32 v109, v40, v58 :: v_dual_mul_f32 v132, 0x3f6f5d39, v131
	v_dual_add_f32 v86, v36, v86 :: v_dual_add_f32 v83, v85, v83
	v_dual_fmamk_f32 v85, v126, 0x3f116cb1, v122 :: v_dual_add_f32 v112, v44, v54
	v_dual_add_f32 v110, v46, v52 :: v_dual_sub_f32 v139, v49, v51
	s_delay_alu instid0(VALU_DEP_3) | instskip(SKIP_2) | instid1(VALU_DEP_4)
	v_add_f32_e32 v83, v84, v83
	v_fma_f32 v84, 0xbf788fa5, v108, -v130
	v_sub_f32_e32 v137, v55, v45
	v_fma_f32 v87, 0x3f62ad3f, v110, -v136
	v_mul_f32_e32 v140, 0xbf29c268, v139
	s_delay_alu instid0(VALU_DEP_4)
	v_dual_add_f32 v83, v85, v83 :: v_dual_add_f32 v84, v84, v86
	v_fmamk_f32 v86, v135, 0xbf3f9e67, v133
	v_fma_f32 v85, 0xbeb58ec6, v109, -v132
	v_dual_mul_f32 v138, 0xbf52af12, v137 :: v_dual_add_f32 v111, v50, v48
	v_mul_f32_e32 v146, 0x3eedf032, v131
	v_dual_mul_f32 v115, 0xbf6f5d39, v105 :: v_dual_mul_f32 v142, 0xbf6f5d39, v127
	s_delay_alu instid0(VALU_DEP_4) | instskip(NEXT) | instid1(VALU_DEP_4)
	v_dual_add_f32 v85, v85, v84 :: v_dual_add_f32 v84, v86, v83
	v_fma_f32 v86, 0x3f116cb1, v112, -v138
	v_mul_f32_e32 v144, 0x3f29c268, v128
	v_mul_f32_e32 v152, 0xbf52af12, v101
	s_delay_alu instid0(VALU_DEP_4) | instskip(SKIP_3) | instid1(VALU_DEP_4)
	v_add_f32_e32 v83, v87, v85
	v_mul_f32_e32 v143, 0xbf7e222b, v102
	v_dual_mul_f32 v145, 0x3e750f2a, v104 :: v_dual_mul_f32 v160, 0x3e750f2a, v134
	v_fma_f32 v88, 0xbf3f9e67, v108, -v144
	v_add_f32_e32 v83, v86, v83
	v_fma_f32 v86, 0xbf3f9e67, v111, -v140
	v_fmamk_f32 v154, v124, 0x3f116cb1, v152
	v_mul_f32_e32 v141, 0x3eedf032, v101
	v_mul_f32_e32 v148, 0xbf7e222b, v134
	;; [unrolled: 1-line block ×3, first 2 shown]
	v_add_f32_e32 v83, v86, v83
	v_fma_f32 v86, 0xbeb58ec6, v107, -v142
	v_mul_f32_e32 v150, 0x3f7e222b, v103
	v_mul_f32_e32 v155, 0x3e750f2a, v102
	;; [unrolled: 1-line block ×3, first 2 shown]
	s_delay_alu instid0(VALU_DEP_4) | instskip(SKIP_2) | instid1(VALU_DEP_4)
	v_dual_mul_f32 v113, 0xbf29c268, v105 :: v_dual_add_f32 v86, v36, v86
	v_fmamk_f32 v85, v121, 0xbeb58ec6, v115
	v_mul_f32_e32 v156, 0x3f7e222b, v128
	v_fmamk_f32 v165, v103, 0xbeedf032, v163
	v_fma_f32 v114, 0x3df6dbef, v110, -v148
	s_delay_alu instid0(VALU_DEP_4) | instskip(SKIP_4) | instid1(VALU_DEP_4)
	v_dual_add_f32 v86, v88, v86 :: v_dual_add_f32 v85, v37, v85
	v_fma_f32 v88, 0x3f62ad3f, v109, -v146
	v_fmamk_f32 v87, v123, 0xbf3f9e67, v116
	v_mul_f32_e32 v161, 0xbf788fa5, v121
	v_mul_f32_e32 v149, 0x3e750f2a, v137
	v_dual_mul_f32 v151, 0x3f52af12, v139 :: v_dual_add_f32 v88, v88, v86
	s_delay_alu instid0(VALU_DEP_4) | instskip(SKIP_3) | instid1(VALU_DEP_3)
	v_add_f32_e32 v85, v87, v85
	v_fmamk_f32 v87, v124, 0x3f62ad3f, v141
	v_dual_mul_f32 v159, 0xbf6f5d39, v106 :: v_dual_mul_f32 v164, 0xbf6f5d39, v139
	v_mul_f32_e32 v166, 0xbf3f9e67, v124
	v_dual_mul_f32 v158, 0xbf52af12, v131 :: v_dual_add_f32 v85, v87, v85
	v_fmamk_f32 v87, v125, 0x3df6dbef, v143
	v_mul_f32_e32 v168, 0x3f116cb1, v125
	v_mul_f32_e32 v170, 0xbeb58ec6, v126
	v_fma_f32 v157, 0x3df6dbef, v108, -v156
	v_fma_f32 v115, 0xbeb58ec6, v121, -v115
	v_add_f32_e32 v85, v87, v85
	v_fmamk_f32 v87, v126, 0xbf788fa5, v145
	v_mul_f32_e32 v169, 0x3eedf032, v128
	v_fma_f32 v116, 0xbf3f9e67, v123, -v116
	v_dual_add_f32 v115, v37, v115 :: v_dual_fmac_f32 v146, 0x3f62ad3f, v109
	s_delay_alu instid0(VALU_DEP_4) | instskip(SKIP_2) | instid1(VALU_DEP_4)
	v_add_f32_e32 v85, v87, v85
	v_fmamk_f32 v87, v135, 0x3f116cb1, v147
	v_fma_f32 v117, 0x3df6dbef, v121, -v117
	v_dual_add_f32 v115, v116, v115 :: v_dual_fmac_f32 v138, 0x3f116cb1, v112
	v_fma_f32 v145, 0xbf788fa5, v126, -v145
	s_delay_alu instid0(VALU_DEP_4)
	v_dual_add_f32 v86, v87, v85 :: v_dual_fmamk_f32 v85, v121, 0xbf3f9e67, v113
	v_add_f32_e32 v87, v114, v88
	v_fma_f32 v88, 0xbf788fa5, v112, -v149
	v_fmamk_f32 v114, v123, 0x3df6dbef, v150
	v_fma_f32 v150, 0x3df6dbef, v123, -v150
	v_add_f32_e32 v85, v37, v85
	v_add_f32_e32 v117, v37, v117
	;; [unrolled: 1-line block ×3, first 2 shown]
	v_fma_f32 v88, 0x3f116cb1, v111, -v151
	s_delay_alu instid0(VALU_DEP_4) | instskip(SKIP_2) | instid1(VALU_DEP_4)
	v_dual_fmac_f32 v129, 0x3df6dbef, v107 :: v_dual_add_f32 v114, v114, v85
	v_fma_f32 v119, 0xbeb58ec6, v124, -v119
	v_fmac_f32_e32 v140, 0xbf3f9e67, v111
	v_add_f32_e32 v85, v88, v87
	s_delay_alu instid0(VALU_DEP_4) | instskip(SKIP_4) | instid1(VALU_DEP_4)
	v_dual_add_f32 v129, v36, v129 :: v_dual_add_f32 v88, v154, v114
	v_fmamk_f32 v114, v125, 0xbf788fa5, v155
	v_mul_f32_e32 v154, 0x3eedf032, v104
	v_fma_f32 v141, 0x3f62ad3f, v124, -v141
	v_fma_f32 v122, 0x3f116cb1, v126, -v122
	v_dual_add_f32 v39, v39, v37 :: v_dual_add_f32 v88, v114, v88
	s_delay_alu instid0(VALU_DEP_3) | instskip(SKIP_1) | instid1(VALU_DEP_3)
	v_dual_fmamk_f32 v114, v126, 0x3f62ad3f, v154 :: v_dual_add_f32 v115, v141, v115
	v_fma_f32 v141, 0x3df6dbef, v125, -v143
	v_add_f32_e32 v39, v57, v39
	v_fmac_f32_e32 v142, 0xbeb58ec6, v107
	s_delay_alu instid0(VALU_DEP_4) | instskip(SKIP_4) | instid1(VALU_DEP_4)
	v_add_f32_e32 v88, v114, v88
	v_fmamk_f32 v114, v135, 0xbeb58ec6, v159
	v_mul_f32_e32 v173, 0x3df6dbef, v135
	v_dual_add_f32 v141, v141, v115 :: v_dual_fmac_f32 v130, 0xbf788fa5, v108
	v_add_f32_e32 v142, v36, v142
	v_add_f32_e32 v88, v114, v88
	v_fmamk_f32 v114, v105, 0x3e750f2a, v161
	s_delay_alu instid0(VALU_DEP_4) | instskip(SKIP_2) | instid1(VALU_DEP_4)
	v_dual_fmac_f32 v144, 0xbf3f9e67, v108 :: v_dual_add_f32 v141, v145, v141
	v_fmac_f32_e32 v149, 0xbf788fa5, v112
	v_mul_f32_e32 v162, 0x3eedf032, v137
	v_dual_add_f32 v114, v37, v114 :: v_dual_fmamk_f32 v171, v108, 0x3f62ad3f, v169
	v_dual_add_f32 v129, v130, v129 :: v_dual_fmac_f32 v136, 0x3f62ad3f, v110
	s_delay_alu instid0(VALU_DEP_2) | instskip(SKIP_4) | instid1(VALU_DEP_4)
	v_dual_mul_f32 v145, 0x3f62ad3f, v135 :: v_dual_add_f32 v114, v165, v114
	v_fmamk_f32 v165, v101, 0x3f29c268, v166
	v_dual_fmac_f32 v166, 0xbf29c268, v101 :: v_dual_add_f32 v39, v59, v39
	v_mul_f32_e32 v174, 0x3f52af12, v134
	v_fmac_f32_e32 v156, 0x3df6dbef, v108
	v_dual_add_f32 v114, v165, v114 :: v_dual_fmamk_f32 v165, v102, 0xbf52af12, v168
	v_fma_f32 v113, 0xbf3f9e67, v121, -v113
	v_add_f32_e32 v142, v144, v142
	v_fma_f32 v144, 0xbf788fa5, v123, -v118
	s_delay_alu instid0(VALU_DEP_4) | instskip(SKIP_4) | instid1(VALU_DEP_4)
	v_dual_mul_f32 v175, 0xbf6f5d39, v137 :: v_dual_add_f32 v114, v165, v114
	v_fmamk_f32 v165, v104, 0x3f6f5d39, v170
	v_mul_f32_e32 v153, 0xbf29c268, v127
	v_add_f32_e32 v113, v37, v113
	v_fmac_f32_e32 v151, 0x3f116cb1, v111
	v_dual_add_f32 v117, v144, v117 :: v_dual_add_f32 v114, v165, v114
	s_delay_alu instid0(VALU_DEP_4) | instskip(NEXT) | instid1(VALU_DEP_4)
	v_fma_f32 v87, 0xbf3f9e67, v107, -v153
	v_add_f32_e32 v113, v150, v113
	v_fma_f32 v150, 0x3f116cb1, v124, -v152
	v_fmac_f32_e32 v153, 0xbf3f9e67, v107
	v_fmamk_f32 v165, v106, 0xbf7e222b, v173
	v_dual_add_f32 v87, v36, v87 :: v_dual_add_f32 v142, v146, v142
	s_delay_alu instid0(VALU_DEP_4) | instskip(NEXT) | instid1(VALU_DEP_3)
	v_dual_add_f32 v150, v150, v113 :: v_dual_mul_f32 v167, 0xbe750f2a, v127
	v_add_f32_e32 v114, v165, v114
	s_delay_alu instid0(VALU_DEP_3) | instskip(SKIP_4) | instid1(VALU_DEP_4)
	v_add_f32_e32 v87, v157, v87
	v_fma_f32 v157, 0x3f116cb1, v109, -v158
	v_fmac_f32_e32 v158, 0x3f116cb1, v109
	v_dual_fmamk_f32 v165, v112, 0xbeb58ec6, v175 :: v_dual_fmac_f32 v132, 0xbeb58ec6, v109
	v_add_f32_e32 v153, v36, v153
	v_add_f32_e32 v87, v157, v87
	v_fma_f32 v157, 0xbf788fa5, v110, -v160
	v_fmac_f32_e32 v160, 0xbf788fa5, v110
	v_fmac_f32_e32 v161, 0xbe750f2a, v105
	v_add_f32_e32 v117, v119, v117
	v_fma_f32 v119, 0x3f62ad3f, v125, -v120
	v_add_f32_e32 v87, v157, v87
	v_fma_f32 v157, 0x3f62ad3f, v112, -v162
	v_fmac_f32_e32 v162, 0x3f62ad3f, v112
	s_delay_alu instid0(VALU_DEP_4) | instskip(NEXT) | instid1(VALU_DEP_3)
	v_dual_fmac_f32 v148, 0x3df6dbef, v110 :: v_dual_add_f32 v119, v119, v117
	v_dual_mul_f32 v146, 0x3f29c268, v134 :: v_dual_add_f32 v87, v157, v87
	v_fma_f32 v157, 0xbeb58ec6, v111, -v164
	v_fmac_f32_e32 v164, 0xbeb58ec6, v111
	s_delay_alu instid0(VALU_DEP_4)
	v_add_f32_e32 v119, v122, v119
	v_fma_f32 v122, 0xbf3f9e67, v135, -v133
	v_fmac_f32_e32 v163, 0x3eedf032, v103
	v_add_f32_e32 v87, v157, v87
	v_fmamk_f32 v157, v107, 0xbf788fa5, v167
	v_dual_mul_f32 v130, 0x3f116cb1, v121 :: v_dual_add_f32 v39, v53, v39
	v_fmac_f32_e32 v173, 0x3f7e222b, v106
	s_delay_alu instid0(VALU_DEP_3) | instskip(SKIP_3) | instid1(VALU_DEP_4)
	v_dual_mul_f32 v144, 0xbe750f2a, v131 :: v_dual_add_f32 v157, v36, v157
	v_mul_f32_e32 v172, 0xbf29c268, v131
	v_add_f32_e32 v38, v38, v36
	v_fmac_f32_e32 v168, 0x3f52af12, v102
	v_dual_fmac_f32 v170, 0xbf6f5d39, v104 :: v_dual_add_f32 v157, v171, v157
	s_delay_alu instid0(VALU_DEP_3) | instskip(NEXT) | instid1(VALU_DEP_1)
	v_dual_fmamk_f32 v171, v109, 0xbf3f9e67, v172 :: v_dual_add_f32 v38, v56, v38
	v_dual_mul_f32 v56, 0xbeedf032, v127 :: v_dual_add_f32 v157, v171, v157
	v_fmamk_f32 v171, v110, 0x3f116cb1, v174
	s_delay_alu instid0(VALU_DEP_2) | instskip(NEXT) | instid1(VALU_DEP_2)
	v_dual_add_f32 v38, v58, v38 :: v_dual_fmamk_f32 v53, v107, 0x3f62ad3f, v56
	v_dual_mul_f32 v58, 0xbf52af12, v128 :: v_dual_add_f32 v157, v171, v157
	s_delay_alu instid0(VALU_DEP_2) | instskip(NEXT) | instid1(VALU_DEP_3)
	v_dual_mul_f32 v171, 0x3f7e222b, v139 :: v_dual_add_f32 v38, v52, v38
	v_add_f32_e32 v52, v36, v53
	s_delay_alu instid0(VALU_DEP_3) | instskip(NEXT) | instid1(VALU_DEP_3)
	v_dual_fmamk_f32 v53, v108, 0x3f116cb1, v58 :: v_dual_add_f32 v152, v165, v157
	v_dual_fmamk_f32 v157, v111, 0x3df6dbef, v171 :: v_dual_add_f32 v38, v54, v38
	v_fma_f32 v155, 0xbf788fa5, v125, -v155
	s_delay_alu instid0(VALU_DEP_3) | instskip(NEXT) | instid1(VALU_DEP_3)
	v_add_f32_e32 v52, v53, v52
	v_dual_add_f32 v113, v157, v152 :: v_dual_add_f32 v152, v156, v153
	s_delay_alu instid0(VALU_DEP_4)
	v_add_f32_e32 v38, v48, v38
	v_mul_f32_e32 v48, 0xbf6f5d39, v134
	v_fma_f32 v153, 0x3f62ad3f, v126, -v154
	v_add_f32_e32 v150, v155, v150
	v_add_f32_e32 v152, v158, v152
	;; [unrolled: 1-line block ×3, first 2 shown]
	v_fmamk_f32 v50, v110, 0xbeb58ec6, v48
	s_delay_alu instid0(VALU_DEP_4) | instskip(NEXT) | instid1(VALU_DEP_4)
	v_add_f32_e32 v150, v153, v150
	v_add_f32_e32 v152, v160, v152
	v_fma_f32 v153, 0xbeb58ec6, v135, -v159
	s_delay_alu instid0(VALU_DEP_2) | instskip(NEXT) | instid1(VALU_DEP_2)
	v_dual_add_f32 v38, v44, v38 :: v_dual_add_f32 v143, v162, v152
	v_add_f32_e32 v116, v153, v150
	s_delay_alu instid0(VALU_DEP_2) | instskip(SKIP_1) | instid1(VALU_DEP_4)
	v_add_f32_e32 v38, v46, v38
	v_fma_f32 v46, 0xbeb58ec6, v112, -v175
	v_add_f32_e32 v115, v164, v143
	v_fma_f32 v143, 0x3f116cb1, v135, -v147
	s_delay_alu instid0(VALU_DEP_4) | instskip(NEXT) | instid1(VALU_DEP_2)
	v_dual_mul_f32 v147, 0x3f62ad3f, v121 :: v_dual_add_f32 v40, v40, v38
	v_dual_add_f32 v118, v143, v141 :: v_dual_add_f32 v141, v148, v142
	v_mul_f32_e32 v148, 0x3eedf032, v139
	v_mul_f32_e32 v142, 0x3df6dbef, v126
	;; [unrolled: 1-line block ×3, first 2 shown]
	v_add_f32_e32 v40, v42, v40
	v_add_f32_e32 v120, v149, v141
	v_mul_f32_e32 v141, 0xbf3f9e67, v125
	s_delay_alu instid0(VALU_DEP_3) | instskip(NEXT) | instid1(VALU_DEP_3)
	v_dual_mul_f32 v125, 0xbeb58ec6, v125 :: v_dual_add_f32 v40, v61, v40
	v_dual_add_f32 v117, v151, v120 :: v_dual_add_f32 v120, v132, v129
	v_fmamk_f32 v129, v105, 0x3f52af12, v130
	v_mul_f32_e32 v132, 0xbeb58ec6, v123
	v_mul_f32_e32 v123, 0x3f116cb1, v123
	s_delay_alu instid0(VALU_DEP_4) | instskip(NEXT) | instid1(VALU_DEP_4)
	v_dual_fmac_f32 v130, 0xbf52af12, v105 :: v_dual_add_f32 v133, v136, v120
	v_dual_add_f32 v120, v122, v119 :: v_dual_add_f32 v119, v37, v129
	s_delay_alu instid0(VALU_DEP_4) | instskip(SKIP_3) | instid1(VALU_DEP_4)
	v_fmamk_f32 v122, v103, 0x3f6f5d39, v132
	v_mul_f32_e32 v129, 0xbf788fa5, v124
	v_fmamk_f32 v149, v103, 0x3f52af12, v123
	v_dual_add_f32 v133, v138, v133 :: v_dual_mul_f32 v124, 0x3df6dbef, v124
	v_add_f32_e32 v122, v122, v119
	s_delay_alu instid0(VALU_DEP_4) | instskip(SKIP_3) | instid1(VALU_DEP_4)
	v_fmamk_f32 v138, v101, 0x3e750f2a, v129
	v_mul_f32_e32 v136, 0xbf52af12, v127
	v_add_f32_e32 v39, v55, v39
	v_mul_f32_e32 v55, 0xbf7e222b, v131
	v_dual_fmac_f32 v123, 0xbf52af12, v103 :: v_dual_add_f32 v122, v138, v122
	s_delay_alu instid0(VALU_DEP_3) | instskip(NEXT) | instid1(VALU_DEP_3)
	v_dual_fmamk_f32 v138, v102, 0xbf29c268, v141 :: v_dual_add_f32 v39, v49, v39
	v_fmamk_f32 v53, v109, 0x3df6dbef, v55
	v_fmac_f32_e32 v141, 0x3f29c268, v102
	v_fmac_f32_e32 v132, 0xbf6f5d39, v103
	s_delay_alu instid0(VALU_DEP_4) | instskip(SKIP_3) | instid1(VALU_DEP_3)
	v_add_f32_e32 v122, v138, v122
	v_dual_fmamk_f32 v138, v104, 0xbf7e222b, v142 :: v_dual_add_f32 v39, v51, v39
	v_fmac_f32_e32 v142, 0x3f7e222b, v104
	v_dual_add_f32 v52, v53, v52 :: v_dual_mul_f32 v53, 0xbf29c268, v137
	v_add_f32_e32 v122, v138, v122
	s_delay_alu instid0(VALU_DEP_4) | instskip(NEXT) | instid1(VALU_DEP_3)
	v_dual_fmamk_f32 v138, v106, 0xbeedf032, v145 :: v_dual_add_f32 v45, v45, v39
	v_add_f32_e32 v44, v50, v52
	v_mul_f32_e32 v50, 0xbe750f2a, v139
	v_fmac_f32_e32 v145, 0x3eedf032, v106
	s_delay_alu instid0(VALU_DEP_4) | instskip(SKIP_2) | instid1(VALU_DEP_2)
	v_add_f32_e32 v122, v138, v122
	v_dual_fmamk_f32 v138, v105, 0x3eedf032, v147 :: v_dual_add_f32 v45, v47, v45
	v_fmamk_f32 v47, v112, 0xbf3f9e67, v53
	v_dual_fmac_f32 v147, 0xbeedf032, v105 :: v_dual_add_f32 v138, v37, v138
	s_delay_alu instid0(VALU_DEP_2) | instskip(SKIP_2) | instid1(VALU_DEP_4)
	v_dual_add_f32 v41, v41, v45 :: v_dual_add_f32 v44, v47, v44
	v_fmamk_f32 v45, v111, 0xbf788fa5, v50
	v_fma_f32 v50, 0xbf788fa5, v111, -v50
	v_dual_add_f32 v138, v149, v138 :: v_dual_add_f32 v119, v140, v133
	v_fmamk_f32 v133, v107, 0x3f116cb1, v136
	v_mul_f32_e32 v140, 0xbf6f5d39, v128
	v_fmamk_f32 v149, v101, 0x3f7e222b, v124
	v_add_f32_e32 v41, v43, v41
	v_add_f32_e32 v43, v37, v161
	;; [unrolled: 1-line block ×3, first 2 shown]
	v_fmamk_f32 v143, v108, 0xbeb58ec6, v140
	v_add_f32_e32 v57, v149, v138
	v_add_f32_e32 v38, v45, v44
	;; [unrolled: 1-line block ×3, first 2 shown]
	v_fma_f32 v44, 0xbf788fa5, v107, -v167
	v_add_f32_e32 v133, v143, v133
	v_fmamk_f32 v143, v109, 0xbf788fa5, v144
	v_add_f32_e32 v45, v37, v130
	s_delay_alu instid0(VALU_DEP_4) | instskip(SKIP_1) | instid1(VALU_DEP_4)
	v_dual_add_f32 v42, v166, v42 :: v_dual_add_f32 v43, v36, v44
	v_fmac_f32_e32 v124, 0xbf7e222b, v101
	v_add_f32_e32 v121, v143, v133
	v_fmamk_f32 v133, v110, 0xbf3f9e67, v146
	v_mul_f32_e32 v143, 0x3f7e222b, v137
	v_fma_f32 v44, 0x3f62ad3f, v108, -v169
	v_add_f32_e32 v42, v168, v42
	v_fmamk_f32 v59, v104, 0x3f29c268, v126
	v_add_f32_e32 v121, v133, v121
	v_fmamk_f32 v133, v112, 0x3df6dbef, v143
	v_add_f32_e32 v43, v44, v43
	v_fma_f32 v44, 0xbf3f9e67, v109, -v172
	v_dual_add_f32 v42, v170, v42 :: v_dual_add_f32 v45, v132, v45
	s_delay_alu instid0(VALU_DEP_4) | instskip(SKIP_1) | instid1(VALU_DEP_4)
	v_add_f32_e32 v121, v133, v121
	v_fmamk_f32 v133, v111, 0x3f62ad3f, v148
	v_add_f32_e32 v43, v44, v43
	v_fma_f32 v44, 0x3f116cb1, v110, -v174
	v_fmac_f32_e32 v129, 0xbe750f2a, v101
	v_add_f32_e32 v37, v37, v147
	v_add_f32_e32 v121, v133, v121
	s_delay_alu instid0(VALU_DEP_4) | instskip(NEXT) | instid1(VALU_DEP_4)
	v_dual_fmamk_f32 v133, v102, 0x3f6f5d39, v125 :: v_dual_add_f32 v44, v44, v43
	v_add_f32_e32 v45, v129, v45
	v_add_f32_e32 v43, v173, v42
	v_fma_f32 v42, 0x3f116cb1, v107, -v136
	s_delay_alu instid0(VALU_DEP_4) | instskip(SKIP_3) | instid1(VALU_DEP_4)
	v_dual_add_f32 v57, v133, v57 :: v_dual_add_f32 v44, v46, v44
	v_fma_f32 v46, 0x3df6dbef, v111, -v171
	v_add_f32_e32 v45, v141, v45
	v_mul_f32_e32 v49, 0xbf788fa5, v135
	v_add_f32_e32 v57, v59, v57
	s_delay_alu instid0(VALU_DEP_4) | instskip(NEXT) | instid1(VALU_DEP_4)
	v_dual_add_f32 v47, v36, v42 :: v_dual_add_f32 v42, v46, v44
	v_add_f32_e32 v44, v142, v45
	v_fma_f32 v45, 0x3f62ad3f, v107, -v56
	v_fmamk_f32 v51, v106, 0x3e750f2a, v49
	v_add_f32_e32 v37, v123, v37
	v_fmac_f32_e32 v125, 0xbf6f5d39, v102
	v_fmac_f32_e32 v126, 0xbf29c268, v104
	v_add_f32_e32 v36, v36, v45
	v_fma_f32 v45, 0x3f116cb1, v108, -v58
	v_add_f32_e32 v39, v51, v57
	v_fma_f32 v51, 0xbeb58ec6, v108, -v140
	v_add_f32_e32 v37, v124, v37
	s_delay_alu instid0(VALU_DEP_4) | instskip(SKIP_1) | instid1(VALU_DEP_4)
	v_dual_fmac_f32 v49, 0xbe750f2a, v106 :: v_dual_add_f32 v36, v45, v36
	v_fma_f32 v45, 0x3df6dbef, v109, -v55
	v_add_f32_e32 v46, v51, v47
	v_fma_f32 v47, 0xbf788fa5, v109, -v144
	v_add_f32_e32 v37, v125, v37
	s_delay_alu instid0(VALU_DEP_4) | instskip(SKIP_1) | instid1(VALU_DEP_4)
	v_add_f32_e32 v36, v45, v36
	v_fma_f32 v45, 0xbeb58ec6, v110, -v48
	v_add_f32_e32 v46, v47, v46
	v_fma_f32 v47, 0xbf3f9e67, v110, -v146
	v_dual_add_f32 v51, v126, v37 :: v_dual_and_b32 v48, 0xffff, v92
	s_delay_alu instid0(VALU_DEP_4) | instskip(SKIP_1) | instid1(VALU_DEP_4)
	v_add_f32_e32 v36, v45, v36
	v_fma_f32 v45, 0xbf3f9e67, v112, -v53
	v_add_f32_e32 v46, v47, v46
	v_fma_f32 v47, 0x3df6dbef, v112, -v143
	v_lshlrev_b32_e32 v48, 3, v48
	v_add_f32_e32 v37, v145, v44
	v_add_f32_e32 v52, v45, v36
	s_delay_alu instid0(VALU_DEP_4) | instskip(SKIP_2) | instid1(VALU_DEP_4)
	v_dual_add_f32 v45, v49, v51 :: v_dual_add_f32 v46, v47, v46
	v_fma_f32 v47, 0x3f62ad3f, v111, -v148
	v_add_f32_e32 v41, v62, v41
	v_add_f32_e32 v44, v50, v52
	s_delay_alu instid0(VALU_DEP_3)
	v_add_f32_e32 v36, v47, v46
	ds_store_2addr_b64 v48, v[40:41], v[38:39] offset1:1
	ds_store_2addr_b64 v48, v[121:122], v[119:120] offset0:2 offset1:3
	ds_store_2addr_b64 v48, v[117:118], v[115:116] offset0:4 offset1:5
	;; [unrolled: 1-line block ×5, first 2 shown]
	ds_store_b64 v48, v[44:45] offset:96
.LBB0_13:
	s_wait_alu 0xfffe
	s_or_b32 exec_lo, exec_lo, s0
	v_add_nc_u32_e32 v36, 0x1200, v91
	v_add_nc_u32_e32 v37, 0x2400, v91
	global_wb scope:SCOPE_SE
	s_wait_dscnt 0x0
	s_barrier_signal -1
	s_barrier_wait -1
	global_inv scope:SCOPE_SE
	ds_load_2addr_b64 v[41:44], v36 offset0:48 offset1:204
	ds_load_2addr_b64 v[45:48], v37 offset0:96 offset1:252
	v_add_nc_u32_e32 v40, 0x1c00, v91
	s_wait_dscnt 0x1
	v_dual_mul_f32 v57, v9, v42 :: v_dual_add_nc_u32 v38, 0x3000, v91
	v_mul_f32_e32 v9, v9, v41
	ds_load_2addr_b64 v[49:52], v40 offset0:40 offset1:196
	s_wait_dscnt 0x1
	v_dual_mul_f32 v58, v11, v46 :: v_dual_add_nc_u32 v39, 0x800, v91
	v_mul_f32_e32 v11, v11, v45
	s_delay_alu instid0(VALU_DEP_2) | instskip(SKIP_1) | instid1(VALU_DEP_1)
	v_dual_mul_f32 v59, v13, v44 :: v_dual_fmac_f32 v58, v10, v45
	s_wait_dscnt 0x0
	v_dual_fmac_f32 v59, v12, v43 :: v_dual_mul_f32 v62, v5, v50
	ds_load_2addr_b64 v[53:56], v91 offset1:156
	ds_load_2addr_b64 v[83:86], v38 offset0:24 offset1:180
	ds_load_2addr_b64 v[101:104], v39 offset0:56 offset1:212
	v_fmac_f32_e32 v57, v8, v41
	v_mul_f32_e32 v41, v1, v52
	v_mul_f32_e32 v1, v1, v51
	v_dual_mul_f32 v13, v13, v43 :: v_dual_fmac_f32 v62, v4, v49
	v_fma_f32 v8, v8, v42, -v9
	s_delay_alu instid0(VALU_DEP_4) | instskip(NEXT) | instid1(VALU_DEP_4)
	v_fmac_f32_e32 v41, v0, v51
	v_fma_f32 v43, v0, v52, -v1
	v_fma_f32 v9, v10, v46, -v11
	;; [unrolled: 1-line block ×3, first 2 shown]
	v_mul_f32_e32 v5, v5, v49
	global_wb scope:SCOPE_SE
	s_wait_dscnt 0x0
	s_barrier_signal -1
	s_barrier_wait -1
	global_inv scope:SCOPE_SE
	v_mul_f32_e32 v42, v3, v86
	v_dual_mul_f32 v61, v15, v48 :: v_dual_add_f32 v0, v57, v58
	v_mul_f32_e32 v15, v15, v47
	v_mul_f32_e32 v3, v3, v85
	s_delay_alu instid0(VALU_DEP_4)
	v_fmac_f32_e32 v42, v2, v85
	v_add_f32_e32 v1, v53, v57
	v_fma_f32 v0, -0.5, v0, v53
	v_fmac_f32_e32 v61, v14, v47
	v_mul_f32_e32 v13, v7, v84
	v_mul_f32_e32 v7, v7, v83
	v_fma_f32 v11, v14, v48, -v15
	v_fma_f32 v44, v2, v86, -v3
	v_add_f32_e32 v3, v8, v9
	v_fmac_f32_e32 v13, v6, v83
	v_fma_f32 v15, v6, v84, -v7
	v_add_f32_e32 v6, v54, v8
	v_fma_f32 v14, v4, v50, -v5
	v_dual_sub_f32 v5, v8, v9 :: v_dual_add_f32 v2, v1, v58
	v_fma_f32 v1, -0.5, v3, v54
	s_delay_alu instid0(VALU_DEP_3) | instskip(NEXT) | instid1(VALU_DEP_3)
	v_dual_sub_f32 v7, v57, v58 :: v_dual_sub_f32 v46, v14, v15
	v_dual_fmamk_f32 v4, v5, 0xbf5db3d7, v0 :: v_dual_add_f32 v3, v6, v9
	v_add_f32_e32 v6, v59, v61
	s_delay_alu instid0(VALU_DEP_3)
	v_dual_fmac_f32 v0, 0x3f5db3d7, v5 :: v_dual_fmamk_f32 v5, v7, 0x3f5db3d7, v1
	v_add_f32_e32 v8, v55, v59
	v_fmac_f32_e32 v1, 0xbf5db3d7, v7
	v_add_f32_e32 v7, v10, v11
	v_fma_f32 v55, -0.5, v6, v55
	v_dual_sub_f32 v9, v10, v11 :: v_dual_add_f32 v10, v56, v10
	v_add_f32_e32 v6, v8, v61
	s_delay_alu instid0(VALU_DEP_4) | instskip(SKIP_1) | instid1(VALU_DEP_4)
	v_fmac_f32_e32 v56, -0.5, v7
	v_add_f32_e32 v48, v104, v43
	v_fmamk_f32 v8, v9, 0xbf5db3d7, v55
	v_fmac_f32_e32 v55, 0x3f5db3d7, v9
	v_add_f32_e32 v7, v10, v11
	v_add_f32_e32 v10, v62, v13
	v_dual_sub_f32 v12, v59, v61 :: v_dual_add_f32 v45, v14, v15
	v_add_f32_e32 v47, v102, v14
	s_delay_alu instid0(VALU_DEP_3) | instskip(SKIP_1) | instid1(VALU_DEP_4)
	v_fma_f32 v10, -0.5, v10, v101
	v_add_f32_e32 v11, v101, v62
	v_fmamk_f32 v9, v12, 0x3f5db3d7, v56
	v_fmac_f32_e32 v56, 0xbf5db3d7, v12
	s_delay_alu instid0(VALU_DEP_4) | instskip(NEXT) | instid1(VALU_DEP_4)
	v_fmamk_f32 v14, v46, 0xbf5db3d7, v10
	v_add_f32_e32 v12, v11, v13
	v_fma_f32 v11, -0.5, v45, v102
	v_dual_sub_f32 v45, v62, v13 :: v_dual_fmac_f32 v10, 0x3f5db3d7, v46
	v_dual_add_f32 v13, v47, v15 :: v_dual_add_f32 v46, v41, v42
	v_add_f32_e32 v47, v103, v41
	s_delay_alu instid0(VALU_DEP_3) | instskip(SKIP_4) | instid1(VALU_DEP_3)
	v_fmamk_f32 v15, v45, 0x3f5db3d7, v11
	v_fmac_f32_e32 v11, 0xbf5db3d7, v45
	v_add_f32_e32 v45, v43, v44
	v_fma_f32 v103, -0.5, v46, v103
	v_sub_f32_e32 v46, v43, v44
	v_dual_fmac_f32 v104, -0.5, v45 :: v_dual_sub_f32 v45, v41, v42
	v_add_f32_e32 v41, v47, v42
	s_delay_alu instid0(VALU_DEP_3) | instskip(NEXT) | instid1(VALU_DEP_3)
	v_dual_fmamk_f32 v43, v46, 0xbf5db3d7, v103 :: v_dual_add_f32 v42, v48, v44
	v_dual_fmac_f32 v103, 0x3f5db3d7, v46 :: v_dual_fmamk_f32 v44, v45, 0x3f5db3d7, v104
	v_fmac_f32_e32 v104, 0xbf5db3d7, v45
	ds_store_2addr_b64 v95, v[2:3], v[4:5] offset1:13
	ds_store_b64 v95, v[0:1] offset:208
	ds_store_2addr_b64 v97, v[6:7], v[8:9] offset1:13
	ds_store_b64 v97, v[55:56] offset:208
	ds_store_2addr_b64 v96, v[12:13], v[14:15] offset1:13
	ds_store_b64 v96, v[10:11] offset:208
	ds_store_2addr_b64 v94, v[41:42], v[43:44] offset1:13
	ds_store_b64 v94, v[103:104] offset:208
	global_wb scope:SCOPE_SE
	s_wait_dscnt 0x0
	s_barrier_signal -1
	s_barrier_wait -1
	global_inv scope:SCOPE_SE
	ds_load_2addr_b64 v[0:3], v39 offset0:56 offset1:212
	ds_load_2addr_b64 v[4:7], v40 offset0:40 offset1:196
	;; [unrolled: 1-line block ×5, first 2 shown]
	ds_load_2addr_b64 v[45:48], v91 offset1:156
	global_wb scope:SCOPE_SE
	s_wait_dscnt 0x0
	s_barrier_signal -1
	s_barrier_wait -1
	global_inv scope:SCOPE_SE
	v_mul_f32_e32 v49, v25, v3
	v_mul_f32_e32 v50, v68, v11
	;; [unrolled: 1-line block ×3, first 2 shown]
	s_delay_alu instid0(VALU_DEP_3) | instskip(SKIP_4) | instid1(VALU_DEP_4)
	v_fmac_f32_e32 v49, v24, v2
	v_dual_mul_f32 v2, v25, v2 :: v_dual_mul_f32 v25, v27, v5
	v_mul_f32_e32 v27, v27, v4
	v_fmac_f32_e32 v50, v67, v10
	v_mul_f32_e32 v10, v21, v12
	v_fma_f32 v2, v24, v3, -v2
	s_delay_alu instid0(VALU_DEP_4) | instskip(SKIP_1) | instid1(VALU_DEP_4)
	v_fma_f32 v3, v26, v5, -v27
	v_mul_f32_e32 v5, v21, v13
	v_fma_f32 v10, v20, v13, -v10
	v_mul_f32_e32 v13, v17, v15
	v_mul_f32_e32 v21, v23, v6
	s_delay_alu instid0(VALU_DEP_4) | instskip(SKIP_3) | instid1(VALU_DEP_4)
	v_dual_fmac_f32 v5, v20, v12 :: v_dual_mul_f32 v12, v17, v14
	v_mul_f32_e32 v17, v19, v9
	v_mul_f32_e32 v19, v19, v8
	v_fmac_f32_e32 v13, v16, v14
	v_fma_f32 v15, v16, v15, -v12
	s_delay_alu instid0(VALU_DEP_4) | instskip(NEXT) | instid1(VALU_DEP_4)
	v_fmac_f32_e32 v17, v18, v8
	v_fma_f32 v14, v18, v9, -v19
	v_fmac_f32_e32 v25, v26, v4
	v_fma_f32 v4, v67, v11, -v51
	v_mul_f32_e32 v11, v23, v7
	v_mul_f32_e32 v23, v66, v42
	s_delay_alu instid0(VALU_DEP_4) | instskip(NEXT) | instid1(VALU_DEP_4)
	v_dual_sub_f32 v12, v46, v3 :: v_dual_sub_f32 v9, v45, v25
	v_sub_f32_e32 v18, v2, v4
	s_delay_alu instid0(VALU_DEP_4)
	v_fmac_f32_e32 v11, v22, v6
	v_fma_f32 v6, v22, v7, -v21
	v_fmac_f32_e32 v23, v65, v41
	v_mul_f32_e32 v7, v66, v41
	v_fma_f32 v4, v45, 2.0, -v9
	v_sub_f32_e32 v22, v47, v11
	v_sub_f32_e32 v8, v49, v50
	v_fma_f32 v20, v46, 2.0, -v12
	v_fma_f32 v21, v2, 2.0, -v18
	v_fma_f32 v7, v65, v42, -v7
	v_mul_f32_e32 v16, v64, v44
	v_fma_f32 v3, v49, 2.0, -v8
	v_mul_f32_e32 v19, v64, v43
	v_fma_f32 v24, v47, 2.0, -v22
	v_sub_f32_e32 v25, v10, v7
	v_fmac_f32_e32 v16, v63, v43
	v_sub_f32_e32 v2, v4, v3
	v_sub_f32_e32 v3, v20, v21
	;; [unrolled: 1-line block ×4, first 2 shown]
	v_fma_f32 v19, v63, v44, -v19
	v_dual_add_f32 v6, v9, v18 :: v_dual_sub_f32 v7, v12, v8
	s_delay_alu instid0(VALU_DEP_4) | instskip(NEXT) | instid1(VALU_DEP_4)
	v_fma_f32 v5, v5, 2.0, -v21
	v_fma_f32 v18, v48, 2.0, -v23
	;; [unrolled: 1-line block ×3, first 2 shown]
	s_delay_alu instid0(VALU_DEP_4)
	v_fma_f32 v10, v9, 2.0, -v6
	v_fma_f32 v11, v12, 2.0, -v7
	v_sub_f32_e32 v8, v24, v5
	v_fma_f32 v5, v20, 2.0, -v3
	v_sub_f32_e32 v9, v18, v26
	v_sub_f32_e32 v26, v1, v14
	;; [unrolled: 1-line block ×3, first 2 shown]
	v_fma_f32 v12, v24, 2.0, -v8
	v_dual_sub_f32 v24, v0, v17 :: v_dual_sub_f32 v19, v15, v19
	v_add_f32_e32 v14, v22, v25
	v_fma_f32 v27, v1, 2.0, -v26
	v_fma_f32 v1, v13, 2.0, -v20
	s_delay_alu instid0(VALU_DEP_4)
	v_fma_f32 v25, v0, 2.0, -v24
	v_fma_f32 v17, v15, 2.0, -v19
	v_sub_f32_e32 v15, v23, v21
	v_fma_f32 v13, v18, 2.0, -v9
	v_add_f32_e32 v18, v24, v19
	v_sub_f32_e32 v16, v25, v1
	v_sub_f32_e32 v17, v27, v17
	;; [unrolled: 1-line block ×3, first 2 shown]
	v_fma_f32 v4, v4, 2.0, -v2
	v_fma_f32 v0, v22, 2.0, -v14
	;; [unrolled: 1-line block ×7, first 2 shown]
	ds_store_2addr_b64 v100, v[4:5], v[10:11] offset1:39
	ds_store_2addr_b64 v100, v[2:3], v[6:7] offset0:78 offset1:117
	ds_store_2addr_b64 v99, v[12:13], v[0:1] offset1:39
	ds_store_2addr_b64 v99, v[8:9], v[14:15] offset0:78 offset1:117
	;; [unrolled: 2-line block ×3, first 2 shown]
	global_wb scope:SCOPE_SE
	s_wait_dscnt 0x0
	s_barrier_signal -1
	s_barrier_wait -1
	global_inv scope:SCOPE_SE
	ds_load_2addr_b64 v[0:3], v39 offset0:56 offset1:212
	ds_load_2addr_b64 v[4:7], v36 offset0:48 offset1:204
	;; [unrolled: 1-line block ×5, first 2 shown]
	ds_load_2addr_b64 v[20:23], v91 offset1:156
	global_wb scope:SCOPE_SE
	s_wait_dscnt 0x0
	s_barrier_signal -1
	s_barrier_wait -1
	global_inv scope:SCOPE_SE
	v_mul_f32_e32 v24, v33, v1
	v_dual_mul_f32 v25, v33, v0 :: v_dual_mul_f32 v26, v35, v5
	s_delay_alu instid0(VALU_DEP_2) | instskip(SKIP_1) | instid1(VALU_DEP_3)
	v_dual_mul_f32 v27, v29, v11 :: v_dual_fmac_f32 v24, v32, v0
	v_mul_f32_e32 v0, v35, v4
	v_fma_f32 v1, v32, v1, -v25
	s_delay_alu instid0(VALU_DEP_4) | instskip(SKIP_1) | instid1(VALU_DEP_4)
	v_dual_mul_f32 v25, v29, v9 :: v_dual_fmac_f32 v26, v34, v4
	v_mul_f32_e32 v4, v29, v8
	v_fma_f32 v0, v34, v5, -v0
	v_mul_f32_e32 v5, v31, v13
	s_delay_alu instid0(VALU_DEP_4)
	v_fmac_f32_e32 v25, v28, v8
	v_mul_f32_e32 v8, v31, v12
	v_fma_f32 v4, v28, v9, -v4
	v_fmac_f32_e32 v27, v28, v10
	v_fmac_f32_e32 v5, v30, v12
	v_mul_f32_e32 v12, v70, v16
	v_fma_f32 v8, v30, v13, -v8
	v_mul_f32_e32 v13, v33, v3
	s_delay_alu instid0(VALU_DEP_3) | instskip(SKIP_2) | instid1(VALU_DEP_4)
	v_fma_f32 v12, v69, v17, -v12
	v_mul_f32_e32 v9, v70, v17
	v_mul_f32_e32 v17, v35, v7
	v_fmac_f32_e32 v13, v32, v2
	s_delay_alu instid0(VALU_DEP_2) | instskip(NEXT) | instid1(VALU_DEP_4)
	v_fmac_f32_e32 v17, v34, v6
	v_fmac_f32_e32 v9, v69, v16
	v_mul_f32_e32 v16, v33, v2
	v_mul_f32_e32 v2, v35, v6
	v_add_f32_e32 v6, v20, v26
	s_delay_alu instid0(VALU_DEP_3) | instskip(SKIP_1) | instid1(VALU_DEP_3)
	v_fma_f32 v16, v32, v3, -v16
	v_mul_f32_e32 v32, v31, v15
	v_dual_add_f32 v6, v6, v5 :: v_dual_mul_f32 v3, v29, v10
	v_fma_f32 v29, v34, v7, -v2
	v_mul_f32_e32 v2, v31, v14
	s_delay_alu instid0(VALU_DEP_4) | instskip(NEXT) | instid1(VALU_DEP_4)
	v_fmac_f32_e32 v32, v30, v14
	v_fma_f32 v28, v28, v11, -v3
	v_mul_f32_e32 v3, v70, v18
	s_delay_alu instid0(VALU_DEP_4) | instskip(SKIP_1) | instid1(VALU_DEP_3)
	v_fma_f32 v14, v30, v15, -v2
	v_add_f32_e32 v2, v26, v5
	v_fma_f32 v15, v69, v19, -v3
	s_delay_alu instid0(VALU_DEP_2) | instskip(SKIP_1) | instid1(VALU_DEP_1)
	v_fma_f32 v7, -0.5, v2, v20
	v_sub_f32_e32 v2, v0, v8
	v_dual_fmamk_f32 v10, v2, 0xbf5db3d7, v7 :: v_dual_add_f32 v3, v0, v8
	v_fmac_f32_e32 v7, 0x3f5db3d7, v2
	v_dual_mul_f32 v31, v70, v19 :: v_dual_add_f32 v2, v4, v12
	v_add_f32_e32 v0, v21, v0
	s_delay_alu instid0(VALU_DEP_4) | instskip(SKIP_1) | instid1(VALU_DEP_4)
	v_fma_f32 v11, -0.5, v3, v21
	v_sub_f32_e32 v3, v26, v5
	v_fmac_f32_e32 v31, v69, v18
	v_add_f32_e32 v5, v1, v4
	v_dual_fmac_f32 v1, -0.5, v2 :: v_dual_sub_f32 v2, v25, v9
	s_delay_alu instid0(VALU_DEP_4) | instskip(SKIP_1) | instid1(VALU_DEP_3)
	v_fmamk_f32 v19, v3, 0x3f5db3d7, v11
	v_dual_fmac_f32 v11, 0xbf5db3d7, v3 :: v_dual_add_f32 v18, v0, v8
	v_fmamk_f32 v3, v2, 0x3f5db3d7, v1
	v_fmac_f32_e32 v1, 0xbf5db3d7, v2
	s_delay_alu instid0(VALU_DEP_1) | instskip(SKIP_2) | instid1(VALU_DEP_2)
	v_dual_mul_f32 v21, 0.5, v3 :: v_dual_mul_f32 v20, 0xbf5db3d7, v1
	v_add_f32_e32 v0, v25, v9
	v_add_f32_e32 v8, v24, v25
	v_fmac_f32_e32 v24, -0.5, v0
	v_sub_f32_e32 v0, v4, v12
	s_delay_alu instid0(VALU_DEP_3) | instskip(NEXT) | instid1(VALU_DEP_2)
	v_dual_add_f32 v8, v8, v9 :: v_dual_mul_f32 v9, 0xbf5db3d7, v3
	v_fmamk_f32 v2, v0, 0xbf5db3d7, v24
	v_fmac_f32_e32 v24, 0x3f5db3d7, v0
	s_delay_alu instid0(VALU_DEP_3) | instskip(NEXT) | instid1(VALU_DEP_3)
	v_add_f32_e32 v0, v6, v8
	v_dual_sub_f32 v6, v6, v8 :: v_dual_fmac_f32 v9, 0.5, v2
	s_delay_alu instid0(VALU_DEP_3) | instskip(NEXT) | instid1(VALU_DEP_2)
	v_dual_fmac_f32 v20, -0.5, v24 :: v_dual_fmac_f32 v21, 0x3f5db3d7, v2
	v_add_f32_e32 v2, v10, v9
	s_delay_alu instid0(VALU_DEP_2)
	v_add_f32_e32 v4, v7, v20
	v_sub_f32_e32 v8, v10, v9
	v_sub_f32_e32 v10, v7, v20
	v_add_f32_e32 v20, v23, v29
	v_dual_add_f32 v12, v5, v12 :: v_dual_mul_f32 v25, -0.5, v1
	v_add_f32_e32 v3, v19, v21
	v_sub_f32_e32 v9, v19, v21
	v_add_f32_e32 v19, v29, v14
	s_delay_alu instid0(VALU_DEP_4) | instskip(SKIP_3) | instid1(VALU_DEP_2)
	v_add_f32_e32 v1, v18, v12
	v_sub_f32_e32 v7, v18, v12
	v_add_f32_e32 v12, v17, v32
	v_add_f32_e32 v18, v22, v17
	v_fma_f32 v21, -0.5, v12, v22
	v_sub_f32_e32 v12, v29, v14
	v_dual_add_f32 v22, v13, v27 :: v_dual_fmac_f32 v25, 0x3f5db3d7, v24
	s_delay_alu instid0(VALU_DEP_4) | instskip(SKIP_2) | instid1(VALU_DEP_4)
	v_add_f32_e32 v18, v18, v32
	v_add_f32_e32 v24, v20, v14
	;; [unrolled: 1-line block ×4, first 2 shown]
	v_fmac_f32_e32 v23, -0.5, v19
	v_fmamk_f32 v19, v12, 0xbf5db3d7, v21
	v_dual_fmac_f32 v21, 0x3f5db3d7, v12 :: v_dual_add_f32 v12, v28, v15
	v_sub_f32_e32 v17, v17, v32
	v_dual_add_f32 v20, v16, v28 :: v_dual_add_f32 v5, v11, v25
	s_delay_alu instid0(VALU_DEP_3) | instskip(NEXT) | instid1(VALU_DEP_3)
	v_dual_sub_f32 v11, v11, v25 :: v_dual_fmac_f32 v16, -0.5, v12
	v_dual_sub_f32 v12, v27, v31 :: v_dual_fmamk_f32 v25, v17, 0x3f5db3d7, v23
	v_dual_fmac_f32 v13, -0.5, v14 :: v_dual_sub_f32 v14, v28, v15
	v_fmac_f32_e32 v23, 0xbf5db3d7, v17
	s_delay_alu instid0(VALU_DEP_3) | instskip(SKIP_1) | instid1(VALU_DEP_4)
	v_fmamk_f32 v17, v12, 0x3f5db3d7, v16
	v_dual_fmac_f32 v16, 0xbf5db3d7, v12 :: v_dual_add_f32 v29, v20, v15
	v_fmamk_f32 v26, v14, 0xbf5db3d7, v13
	v_fmac_f32_e32 v13, 0x3f5db3d7, v14
	s_delay_alu instid0(VALU_DEP_3) | instskip(SKIP_2) | instid1(VALU_DEP_3)
	v_dual_mul_f32 v27, 0xbf5db3d7, v17 :: v_dual_mul_f32 v28, 0xbf5db3d7, v16
	v_dual_mul_f32 v30, 0.5, v17 :: v_dual_mul_f32 v31, -0.5, v16
	v_add_f32_e32 v12, v18, v22
	v_dual_fmac_f32 v27, 0.5, v26 :: v_dual_fmac_f32 v28, -0.5, v13
	s_delay_alu instid0(VALU_DEP_3) | instskip(SKIP_1) | instid1(VALU_DEP_3)
	v_dual_fmac_f32 v30, 0x3f5db3d7, v26 :: v_dual_fmac_f32 v31, 0x3f5db3d7, v13
	v_dual_add_f32 v13, v24, v29 :: v_dual_sub_f32 v18, v18, v22
	v_sub_f32_e32 v22, v21, v28
	s_delay_alu instid0(VALU_DEP_3) | instskip(NEXT) | instid1(VALU_DEP_4)
	v_dual_add_f32 v14, v19, v27 :: v_dual_add_f32 v15, v25, v30
	v_add_f32_e32 v17, v23, v31
	v_sub_f32_e32 v20, v19, v27
	v_dual_add_f32 v16, v21, v28 :: v_dual_sub_f32 v19, v24, v29
	v_sub_f32_e32 v21, v25, v30
	v_sub_f32_e32 v23, v23, v31
	ds_store_2addr_b64 v91, v[0:1], v[2:3] offset1:156
	ds_store_2addr_b64 v39, v[4:5], v[6:7] offset0:56 offset1:212
	ds_store_2addr_b64 v36, v[8:9], v[10:11] offset0:48 offset1:204
	;; [unrolled: 1-line block ×5, first 2 shown]
	global_wb scope:SCOPE_SE
	s_wait_dscnt 0x0
	s_barrier_signal -1
	s_barrier_wait -1
	global_inv scope:SCOPE_SE
	ds_load_2addr_b64 v[0:3], v40 offset0:40 offset1:196
	ds_load_2addr_b64 v[4:7], v37 offset0:96 offset1:252
	;; [unrolled: 1-line block ×3, first 2 shown]
	ds_load_2addr_b64 v[12:15], v91 offset1:156
	ds_load_2addr_b64 v[16:19], v39 offset0:56 offset1:212
	ds_load_2addr_b64 v[20:23], v36 offset0:48 offset1:204
	s_wait_dscnt 0x5
	v_mul_f32_e32 v24, v78, v1
	v_mul_f32_e32 v25, v78, v0
	;; [unrolled: 1-line block ×3, first 2 shown]
	s_wait_dscnt 0x4
	v_dual_mul_f32 v27, v82, v2 :: v_dual_mul_f32 v28, v80, v7
	v_fmac_f32_e32 v24, v77, v0
	v_fma_f32 v1, v77, v1, -v25
	v_dual_fmac_f32 v26, v81, v2 :: v_dual_mul_f32 v25, v74, v5
	v_mul_f32_e32 v0, v74, v4
	v_mul_f32_e32 v2, v80, v6
	v_fma_f32 v27, v81, v3, -v27
	s_wait_dscnt 0x3
	v_mul_f32_e32 v29, v72, v9
	v_fmac_f32_e32 v25, v73, v4
	v_fma_f32 v30, v73, v5, -v0
	v_fma_f32 v31, v79, v7, -v2
	v_mul_f32_e32 v2, v72, v8
	v_mul_f32_e32 v32, v76, v11
	;; [unrolled: 1-line block ×3, first 2 shown]
	v_fmac_f32_e32 v28, v79, v6
	v_fmac_f32_e32 v29, v71, v8
	s_wait_dscnt 0x2
	v_sub_f32_e32 v0, v12, v24
	v_fma_f32 v24, v71, v9, -v2
	v_dual_sub_f32 v1, v13, v1 :: v_dual_fmac_f32 v32, v75, v10
	v_fma_f32 v33, v75, v11, -v3
	s_wait_dscnt 0x1
	v_dual_sub_f32 v6, v16, v25 :: v_dual_sub_f32 v7, v17, v30
	v_dual_sub_f32 v4, v14, v26 :: v_dual_sub_f32 v5, v15, v27
	;; [unrolled: 1-line block ×3, first 2 shown]
	v_fma_f32 v2, v12, 2.0, -v0
	v_fma_f32 v3, v13, 2.0, -v1
	;; [unrolled: 1-line block ×4, first 2 shown]
	s_wait_dscnt 0x0
	v_dual_sub_f32 v16, v20, v29 :: v_dual_sub_f32 v17, v21, v24
	v_dual_sub_f32 v24, v22, v32 :: v_dual_sub_f32 v25, v23, v33
	v_fma_f32 v8, v14, 2.0, -v4
	v_fma_f32 v9, v15, 2.0, -v5
	;; [unrolled: 1-line block ×8, first 2 shown]
	ds_store_2addr_b64 v91, v[2:3], v[8:9] offset1:156
	ds_store_2addr_b64 v40, v[0:1], v[4:5] offset0:40 offset1:196
	ds_store_2addr_b64 v39, v[12:13], v[14:15] offset0:56 offset1:212
	;; [unrolled: 1-line block ×5, first 2 shown]
	global_wb scope:SCOPE_SE
	s_wait_dscnt 0x0
	s_barrier_signal -1
	s_barrier_wait -1
	global_inv scope:SCOPE_SE
	s_and_b32 exec_lo, exec_lo, vcc_lo
	s_cbranch_execz .LBB0_15
; %bb.14:
	s_clause 0xb
	global_load_b64 v[24:25], v89, s[8:9]
	global_load_b64 v[26:27], v89, s[8:9] offset:1152
	global_load_b64 v[28:29], v89, s[8:9] offset:2304
	;; [unrolled: 1-line block ×11, first 2 shown]
	v_mad_co_u64_u32 v[12:13], null, s6, v60, 0
	ds_load_b64 v[50:51], v91
	v_mad_co_u64_u32 v[48:49], null, s4, v90, 0
	s_mov_b32 s2, 0x11811812
	s_mov_b32 s3, 0x3f418118
	v_dual_mov_b32 v0, v13 :: v_dual_add_nc_u32 v1, 0x400, v93
	v_add_nc_u32_e32 v5, 0xc00, v93
	s_mul_u64 s[0:1], s[4:5], 0x480
	s_delay_alu instid0(VALU_DEP_3)
	v_mov_b32_e32 v4, v49
	v_add_nc_u32_e32 v16, 0x2800, v93
	v_mad_co_u64_u32 v[8:9], null, s7, v60, v[0:1]
	ds_load_2addr_b64 v[0:3], v1 offset0:16 offset1:160
	v_mad_co_u64_u32 v[14:15], null, s5, v90, v[4:5]
	ds_load_2addr_b64 v[4:7], v5 offset0:48 offset1:192
	v_dual_mov_b32 v13, v8 :: v_dual_add_nc_u32 v20, 0x3000, v93
	v_mov_b32_e32 v49, v14
	s_delay_alu instid0(VALU_DEP_2) | instskip(NEXT) | instid1(VALU_DEP_2)
	v_lshlrev_b64_e32 v[52:53], 3, v[12:13]
	v_lshlrev_b64_e32 v[48:49], 3, v[48:49]
	s_delay_alu instid0(VALU_DEP_2) | instskip(NEXT) | instid1(VALU_DEP_3)
	v_add_co_u32 v52, vcc_lo, s12, v52
	v_add_co_ci_u32_e32 v53, vcc_lo, s13, v53, vcc_lo
	s_delay_alu instid0(VALU_DEP_2) | instskip(SKIP_1) | instid1(VALU_DEP_2)
	v_add_co_u32 v48, vcc_lo, v52, v48
	s_wait_alu 0xfffd
	v_add_co_ci_u32_e32 v49, vcc_lo, v53, v49, vcc_lo
	s_wait_alu 0xfffe
	s_delay_alu instid0(VALU_DEP_2) | instskip(SKIP_1) | instid1(VALU_DEP_2)
	v_add_co_u32 v52, vcc_lo, v48, s0
	s_wait_alu 0xfffd
	v_add_co_ci_u32_e32 v53, vcc_lo, s1, v49, vcc_lo
	s_wait_loadcnt_dscnt 0xa01
	v_dual_mul_f32 v54, v51, v25 :: v_dual_mul_f32 v55, v1, v27
	v_add_nc_u32_e32 v9, 0x1400, v93
	s_wait_loadcnt 0x9
	v_dual_mul_f32 v27, v0, v27 :: v_dual_mul_f32 v56, v3, v29
	s_delay_alu instid0(VALU_DEP_3)
	v_dual_fmac_f32 v54, v50, v24 :: v_dual_add_nc_u32 v15, 0x1e00, v93
	ds_load_2addr_b64 v[8:11], v9 offset0:80 offset1:224
	v_mul_f32_e32 v25, v50, v25
	v_fmac_f32_e32 v56, v2, v28
	ds_load_2addr_b64 v[12:15], v15 offset0:48 offset1:192
	ds_load_2addr_b64 v[16:19], v16 offset0:16 offset1:160
	;; [unrolled: 1-line block ×3, first 2 shown]
	v_mul_f32_e32 v29, v2, v29
	s_wait_loadcnt_dscnt 0x704
	v_dual_mul_f32 v57, v5, v31 :: v_dual_mul_f32 v58, v7, v33
	v_mul_f32_e32 v31, v4, v31
	v_mul_f32_e32 v33, v6, v33
	v_fma_f32 v24, v24, v51, -v25
	v_fmac_f32_e32 v55, v0, v26
	v_fma_f32 v25, v26, v1, -v27
	v_fma_f32 v26, v28, v3, -v29
	v_fmac_f32_e32 v57, v4, v30
	v_fma_f32 v28, v32, v7, -v33
	v_cvt_f64_f32_e32 v[0:1], v54
	v_cvt_f64_f32_e32 v[2:3], v24
	v_add_co_u32 v54, vcc_lo, v52, s0
	v_fmac_f32_e32 v58, v6, v32
	s_wait_loadcnt_dscnt 0x503
	v_dual_mul_f32 v60, v11, v37 :: v_dual_mul_f32 v59, v9, v35
	s_wait_loadcnt_dscnt 0x302
	v_dual_mul_f32 v62, v15, v41 :: v_dual_mul_f32 v35, v8, v35
	s_wait_loadcnt_dscnt 0x101
	v_mul_f32_e32 v64, v19, v45
	v_mul_f32_e32 v37, v10, v37
	;; [unrolled: 1-line block ×3, first 2 shown]
	v_dual_mul_f32 v39, v12, v39 :: v_dual_fmac_f32 v60, v10, v36
	v_mul_f32_e32 v41, v14, v41
	v_fma_f32 v27, v30, v5, -v31
	v_dual_mul_f32 v63, v17, v43 :: v_dual_fmac_f32 v62, v14, v40
	v_dual_mul_f32 v43, v16, v43 :: v_dual_fmac_f32 v64, v18, v44
	v_mul_f32_e32 v45, v18, v45
	s_wait_loadcnt_dscnt 0x0
	v_mul_f32_e32 v65, v21, v47
	v_mul_f32_e32 v47, v20, v47
	v_fmac_f32_e32 v59, v8, v34
	v_fma_f32 v29, v34, v9, -v35
	v_fma_f32 v30, v36, v11, -v37
	v_cvt_f64_f32_e32 v[4:5], v55
	v_cvt_f64_f32_e32 v[6:7], v25
	v_fmac_f32_e32 v61, v12, v38
	v_fma_f32 v32, v38, v13, -v39
	v_cvt_f64_f32_e32 v[8:9], v56
	v_cvt_f64_f32_e32 v[10:11], v26
	v_fma_f32 v36, v40, v15, -v41
	v_cvt_f64_f32_e32 v[12:13], v57
	v_cvt_f64_f32_e32 v[14:15], v27
	v_fmac_f32_e32 v63, v16, v42
	v_fma_f32 v40, v42, v17, -v43
	v_fma_f32 v44, v44, v19, -v45
	v_cvt_f64_f32_e32 v[16:17], v58
	v_cvt_f64_f32_e32 v[18:19], v28
	v_fmac_f32_e32 v65, v20, v46
	v_fma_f32 v50, v46, v21, -v47
	v_cvt_f64_f32_e32 v[20:21], v59
	v_cvt_f64_f32_e32 v[24:25], v29
	;; [unrolled: 1-line block ×14, first 2 shown]
	v_mul_f64_e32 v[0:1], s[2:3], v[0:1]
	v_mul_f64_e32 v[2:3], s[2:3], v[2:3]
	s_wait_alu 0xfffd
	v_add_co_ci_u32_e32 v55, vcc_lo, s1, v53, vcc_lo
	v_add_co_u32 v56, vcc_lo, v54, s0
	s_wait_alu 0xfffd
	s_delay_alu instid0(VALU_DEP_2)
	v_add_co_ci_u32_e32 v57, vcc_lo, s1, v55, vcc_lo
	v_mul_f64_e32 v[4:5], s[2:3], v[4:5]
	v_mul_f64_e32 v[6:7], s[2:3], v[6:7]
	v_add_co_u32 v58, vcc_lo, v56, s0
	v_mul_f64_e32 v[8:9], s[2:3], v[8:9]
	v_mul_f64_e32 v[10:11], s[2:3], v[10:11]
	;; [unrolled: 1-line block ×4, first 2 shown]
	s_wait_alu 0xfffd
	v_add_co_ci_u32_e32 v59, vcc_lo, s1, v57, vcc_lo
	v_add_co_u32 v60, vcc_lo, v58, s0
	v_mul_f64_e32 v[16:17], s[2:3], v[16:17]
	v_mul_f64_e32 v[18:19], s[2:3], v[18:19]
	s_wait_alu 0xfffd
	v_add_co_ci_u32_e32 v61, vcc_lo, s1, v59, vcc_lo
	v_mul_f64_e32 v[20:21], s[2:3], v[20:21]
	v_mul_f64_e32 v[24:25], s[2:3], v[24:25]
	;; [unrolled: 1-line block ×14, first 2 shown]
	v_cvt_f32_f64_e32 v0, v[0:1]
	v_cvt_f32_f64_e32 v1, v[2:3]
	;; [unrolled: 1-line block ×24, first 2 shown]
	v_add_co_u32 v26, vcc_lo, v60, s0
	s_wait_alu 0xfffd
	v_add_co_ci_u32_e32 v27, vcc_lo, s1, v61, vcc_lo
	s_delay_alu instid0(VALU_DEP_2) | instskip(SKIP_1) | instid1(VALU_DEP_2)
	v_add_co_u32 v28, vcc_lo, v26, s0
	s_wait_alu 0xfffd
	v_add_co_ci_u32_e32 v29, vcc_lo, s1, v27, vcc_lo
	s_delay_alu instid0(VALU_DEP_2) | instskip(SKIP_1) | instid1(VALU_DEP_2)
	;; [unrolled: 4-line block ×5, first 2 shown]
	v_add_co_u32 v36, vcc_lo, v34, s0
	s_wait_alu 0xfffd
	v_add_co_ci_u32_e32 v37, vcc_lo, s1, v35, vcc_lo
	s_clause 0x4
	global_store_b64 v[48:49], v[0:1], off
	global_store_b64 v[52:53], v[2:3], off
	;; [unrolled: 1-line block ×12, first 2 shown]
	global_load_b64 v[0:1], v89, s[8:9] offset:13824
	s_wait_loadcnt 0x0
	v_mul_f32_e32 v2, v23, v1
	v_mul_f32_e32 v1, v22, v1
	s_delay_alu instid0(VALU_DEP_2) | instskip(NEXT) | instid1(VALU_DEP_2)
	v_fmac_f32_e32 v2, v22, v0
	v_fma_f32 v3, v0, v23, -v1
	s_delay_alu instid0(VALU_DEP_2) | instskip(NEXT) | instid1(VALU_DEP_2)
	v_cvt_f64_f32_e32 v[0:1], v2
	v_cvt_f64_f32_e32 v[2:3], v3
	s_delay_alu instid0(VALU_DEP_2) | instskip(NEXT) | instid1(VALU_DEP_2)
	v_mul_f64_e32 v[0:1], s[2:3], v[0:1]
	v_mul_f64_e32 v[2:3], s[2:3], v[2:3]
	s_delay_alu instid0(VALU_DEP_2) | instskip(NEXT) | instid1(VALU_DEP_2)
	v_cvt_f32_f64_e32 v0, v[0:1]
	v_cvt_f32_f64_e32 v1, v[2:3]
	v_add_co_u32 v2, vcc_lo, v36, s0
	s_wait_alu 0xfffd
	v_add_co_ci_u32_e32 v3, vcc_lo, s1, v37, vcc_lo
	global_store_b64 v[2:3], v[0:1], off
.LBB0_15:
	s_nop 0
	s_sendmsg sendmsg(MSG_DEALLOC_VGPRS)
	s_endpgm
	.section	.rodata,"a",@progbits
	.p2align	6, 0x0
	.amdhsa_kernel bluestein_single_fwd_len1872_dim1_sp_op_CI_CI
		.amdhsa_group_segment_fixed_size 14976
		.amdhsa_private_segment_fixed_size 0
		.amdhsa_kernarg_size 104
		.amdhsa_user_sgpr_count 2
		.amdhsa_user_sgpr_dispatch_ptr 0
		.amdhsa_user_sgpr_queue_ptr 0
		.amdhsa_user_sgpr_kernarg_segment_ptr 1
		.amdhsa_user_sgpr_dispatch_id 0
		.amdhsa_user_sgpr_private_segment_size 0
		.amdhsa_wavefront_size32 1
		.amdhsa_uses_dynamic_stack 0
		.amdhsa_enable_private_segment 0
		.amdhsa_system_sgpr_workgroup_id_x 1
		.amdhsa_system_sgpr_workgroup_id_y 0
		.amdhsa_system_sgpr_workgroup_id_z 0
		.amdhsa_system_sgpr_workgroup_info 0
		.amdhsa_system_vgpr_workitem_id 0
		.amdhsa_next_free_vgpr 176
		.amdhsa_next_free_sgpr 14
		.amdhsa_reserve_vcc 1
		.amdhsa_float_round_mode_32 0
		.amdhsa_float_round_mode_16_64 0
		.amdhsa_float_denorm_mode_32 3
		.amdhsa_float_denorm_mode_16_64 3
		.amdhsa_fp16_overflow 0
		.amdhsa_workgroup_processor_mode 1
		.amdhsa_memory_ordered 1
		.amdhsa_forward_progress 0
		.amdhsa_round_robin_scheduling 0
		.amdhsa_exception_fp_ieee_invalid_op 0
		.amdhsa_exception_fp_denorm_src 0
		.amdhsa_exception_fp_ieee_div_zero 0
		.amdhsa_exception_fp_ieee_overflow 0
		.amdhsa_exception_fp_ieee_underflow 0
		.amdhsa_exception_fp_ieee_inexact 0
		.amdhsa_exception_int_div_zero 0
	.end_amdhsa_kernel
	.text
.Lfunc_end0:
	.size	bluestein_single_fwd_len1872_dim1_sp_op_CI_CI, .Lfunc_end0-bluestein_single_fwd_len1872_dim1_sp_op_CI_CI
                                        ; -- End function
	.section	.AMDGPU.csdata,"",@progbits
; Kernel info:
; codeLenInByte = 16312
; NumSgprs: 16
; NumVgprs: 176
; ScratchSize: 0
; MemoryBound: 0
; FloatMode: 240
; IeeeMode: 1
; LDSByteSize: 14976 bytes/workgroup (compile time only)
; SGPRBlocks: 1
; VGPRBlocks: 21
; NumSGPRsForWavesPerEU: 16
; NumVGPRsForWavesPerEU: 176
; Occupancy: 8
; WaveLimiterHint : 1
; COMPUTE_PGM_RSRC2:SCRATCH_EN: 0
; COMPUTE_PGM_RSRC2:USER_SGPR: 2
; COMPUTE_PGM_RSRC2:TRAP_HANDLER: 0
; COMPUTE_PGM_RSRC2:TGID_X_EN: 1
; COMPUTE_PGM_RSRC2:TGID_Y_EN: 0
; COMPUTE_PGM_RSRC2:TGID_Z_EN: 0
; COMPUTE_PGM_RSRC2:TIDIG_COMP_CNT: 0
	.text
	.p2alignl 7, 3214868480
	.fill 96, 4, 3214868480
	.type	__hip_cuid_4d3bc18ea20fdcf3,@object ; @__hip_cuid_4d3bc18ea20fdcf3
	.section	.bss,"aw",@nobits
	.globl	__hip_cuid_4d3bc18ea20fdcf3
__hip_cuid_4d3bc18ea20fdcf3:
	.byte	0                               ; 0x0
	.size	__hip_cuid_4d3bc18ea20fdcf3, 1

	.ident	"AMD clang version 19.0.0git (https://github.com/RadeonOpenCompute/llvm-project roc-6.4.0 25133 c7fe45cf4b819c5991fe208aaa96edf142730f1d)"
	.section	".note.GNU-stack","",@progbits
	.addrsig
	.addrsig_sym __hip_cuid_4d3bc18ea20fdcf3
	.amdgpu_metadata
---
amdhsa.kernels:
  - .args:
      - .actual_access:  read_only
        .address_space:  global
        .offset:         0
        .size:           8
        .value_kind:     global_buffer
      - .actual_access:  read_only
        .address_space:  global
        .offset:         8
        .size:           8
        .value_kind:     global_buffer
      - .actual_access:  read_only
        .address_space:  global
        .offset:         16
        .size:           8
        .value_kind:     global_buffer
      - .actual_access:  read_only
        .address_space:  global
        .offset:         24
        .size:           8
        .value_kind:     global_buffer
      - .actual_access:  read_only
        .address_space:  global
        .offset:         32
        .size:           8
        .value_kind:     global_buffer
      - .offset:         40
        .size:           8
        .value_kind:     by_value
      - .address_space:  global
        .offset:         48
        .size:           8
        .value_kind:     global_buffer
      - .address_space:  global
        .offset:         56
        .size:           8
        .value_kind:     global_buffer
      - .address_space:  global
        .offset:         64
        .size:           8
        .value_kind:     global_buffer
      - .address_space:  global
        .offset:         72
        .size:           8
        .value_kind:     global_buffer
      - .offset:         80
        .size:           4
        .value_kind:     by_value
      - .address_space:  global
        .offset:         88
        .size:           8
        .value_kind:     global_buffer
      - .address_space:  global
        .offset:         96
        .size:           8
        .value_kind:     global_buffer
    .group_segment_fixed_size: 14976
    .kernarg_segment_align: 8
    .kernarg_segment_size: 104
    .language:       OpenCL C
    .language_version:
      - 2
      - 0
    .max_flat_workgroup_size: 156
    .name:           bluestein_single_fwd_len1872_dim1_sp_op_CI_CI
    .private_segment_fixed_size: 0
    .sgpr_count:     16
    .sgpr_spill_count: 0
    .symbol:         bluestein_single_fwd_len1872_dim1_sp_op_CI_CI.kd
    .uniform_work_group_size: 1
    .uses_dynamic_stack: false
    .vgpr_count:     176
    .vgpr_spill_count: 0
    .wavefront_size: 32
    .workgroup_processor_mode: 1
amdhsa.target:   amdgcn-amd-amdhsa--gfx1201
amdhsa.version:
  - 1
  - 2
...

	.end_amdgpu_metadata
